;; amdgpu-corpus repo=ROCm/rocFFT kind=compiled arch=gfx906 opt=O3
	.text
	.amdgcn_target "amdgcn-amd-amdhsa--gfx906"
	.amdhsa_code_object_version 6
	.protected	bluestein_single_fwd_len462_dim1_dp_op_CI_CI ; -- Begin function bluestein_single_fwd_len462_dim1_dp_op_CI_CI
	.globl	bluestein_single_fwd_len462_dim1_dp_op_CI_CI
	.p2align	8
	.type	bluestein_single_fwd_len462_dim1_dp_op_CI_CI,@function
bluestein_single_fwd_len462_dim1_dp_op_CI_CI: ; @bluestein_single_fwd_len462_dim1_dp_op_CI_CI
; %bb.0:
	v_mul_u32_u24_e32 v1, 0x354, v0
	s_load_dwordx4 s[0:3], s[4:5], 0x28
	v_lshrrev_b32_e32 v1, 16, v1
	v_mad_u64_u32 v[92:93], s[6:7], s6, 3, v[1:2]
	v_mov_b32_e32 v93, 0
	s_waitcnt lgkmcnt(0)
	v_cmp_gt_u64_e32 vcc, s[0:1], v[92:93]
	s_and_saveexec_b64 s[0:1], vcc
	s_cbranch_execz .LBB0_23
; %bb.1:
	s_mov_b32 s0, 0xaaaaaaab
	v_mul_hi_u32 v2, v92, s0
	v_mul_lo_u16_e32 v1, 0x4d, v1
	s_load_dwordx2 s[12:13], s[4:5], 0x0
	s_load_dwordx2 s[6:7], s[4:5], 0x38
	v_sub_u16_e32 v185, v0, v1
	v_lshrrev_b32_e32 v0, 1, v2
	v_lshl_add_u32 v0, v0, 1, v0
	v_sub_u32_e32 v0, v92, v0
	v_mul_u32_u24_e32 v188, 0x1ce, v0
	v_cmp_gt_u16_e64 s[0:1], 42, v185
	v_lshlrev_b32_e32 v186, 4, v185
	v_lshlrev_b32_e32 v187, 4, v188
	s_and_saveexec_b64 s[14:15], s[0:1]
	s_cbranch_execz .LBB0_3
; %bb.2:
	s_load_dwordx2 s[8:9], s[4:5], 0x18
	s_waitcnt lgkmcnt(0)
	s_load_dwordx4 s[8:11], s[8:9], 0x0
	s_waitcnt lgkmcnt(0)
	v_mad_u64_u32 v[0:1], s[16:17], s10, v92, 0
	v_mad_u64_u32 v[2:3], s[16:17], s8, v185, 0
	;; [unrolled: 1-line block ×4, first 2 shown]
	v_mov_b32_e32 v1, v4
	v_lshlrev_b64 v[0:1], 4, v[0:1]
	v_mov_b32_e32 v3, v5
	v_mov_b32_e32 v6, s3
	v_lshlrev_b64 v[2:3], 4, v[2:3]
	v_add_co_u32_e32 v0, vcc, s2, v0
	v_addc_co_u32_e32 v1, vcc, v6, v1, vcc
	v_add_co_u32_e32 v16, vcc, v0, v2
	v_addc_co_u32_e32 v17, vcc, v1, v3, vcc
	v_mov_b32_e32 v0, s13
	v_add_co_u32_e32 v62, vcc, s12, v186
	s_mul_i32 s2, s9, 0x2a0
	s_mul_hi_u32 s3, s8, 0x2a0
	v_addc_co_u32_e32 v63, vcc, 0, v0, vcc
	s_add_i32 s2, s3, s2
	s_mul_i32 s3, s8, 0x2a0
	v_mov_b32_e32 v0, s2
	v_add_co_u32_e32 v18, vcc, s3, v16
	v_addc_co_u32_e32 v19, vcc, v17, v0, vcc
	global_load_dwordx4 v[0:3], v[16:17], off
	global_load_dwordx4 v[4:7], v[18:19], off
	global_load_dwordx4 v[8:11], v186, s[12:13]
	global_load_dwordx4 v[12:15], v186, s[12:13] offset:672
	v_mov_b32_e32 v16, s2
	v_add_co_u32_e32 v32, vcc, s3, v18
	v_addc_co_u32_e32 v33, vcc, v19, v16, vcc
	v_add_co_u32_e32 v34, vcc, s3, v32
	v_addc_co_u32_e32 v35, vcc, v33, v16, vcc
	global_load_dwordx4 v[16:19], v[32:33], off
	global_load_dwordx4 v[20:23], v[34:35], off
	global_load_dwordx4 v[24:27], v186, s[12:13] offset:1344
	global_load_dwordx4 v[28:31], v186, s[12:13] offset:2016
	v_mov_b32_e32 v32, s2
	v_add_co_u32_e32 v36, vcc, s3, v34
	v_addc_co_u32_e32 v37, vcc, v35, v32, vcc
	v_mov_b32_e32 v38, s2
	v_add_co_u32_e32 v48, vcc, s3, v36
	v_addc_co_u32_e32 v49, vcc, v37, v38, vcc
	;; [unrolled: 3-line block ×4, first 2 shown]
	s_movk_i32 s8, 0x1000
	v_add_co_u32_e32 v88, vcc, s8, v62
	global_load_dwordx4 v[32:35], v[36:37], off
	v_addc_co_u32_e32 v89, vcc, 0, v63, vcc
	global_load_dwordx4 v[36:39], v[48:49], off
	global_load_dwordx4 v[40:43], v186, s[12:13] offset:2688
	global_load_dwordx4 v[44:47], v186, s[12:13] offset:3360
	v_mov_b32_e32 v62, s2
	v_add_co_u32_e32 v72, vcc, s3, v60
	global_load_dwordx4 v[48:51], v[56:57], off
	global_load_dwordx4 v[52:55], v186, s[12:13] offset:4032
	v_addc_co_u32_e32 v73, vcc, v61, v62, vcc
	global_load_dwordx4 v[56:59], v[60:61], off
	v_mov_b32_e32 v74, s2
	v_add_co_u32_e32 v76, vcc, s3, v72
	global_load_dwordx4 v[60:63], v[72:73], off
	global_load_dwordx4 v[64:67], v[88:89], off offset:608
	global_load_dwordx4 v[68:71], v[88:89], off offset:1280
	v_addc_co_u32_e32 v77, vcc, v73, v74, vcc
	global_load_dwordx4 v[72:75], v[76:77], off
	v_mov_b32_e32 v78, s2
	v_add_co_u32_e32 v90, vcc, s3, v76
	v_addc_co_u32_e32 v91, vcc, v77, v78, vcc
	global_load_dwordx4 v[76:79], v[88:89], off offset:1952
	global_load_dwordx4 v[80:83], v[90:91], off
	global_load_dwordx4 v[84:87], v[88:89], off offset:2624
	s_waitcnt vmcnt(19)
	v_mul_f64 v[88:89], v[2:3], v[10:11]
	v_mul_f64 v[10:11], v[0:1], v[10:11]
	s_waitcnt vmcnt(18)
	v_mul_f64 v[90:91], v[6:7], v[14:15]
	v_mul_f64 v[14:15], v[4:5], v[14:15]
	v_fma_f64 v[0:1], v[0:1], v[8:9], v[88:89]
	v_fma_f64 v[2:3], v[2:3], v[8:9], -v[10:11]
	s_waitcnt vmcnt(15)
	v_mul_f64 v[93:94], v[18:19], v[26:27]
	v_mul_f64 v[26:27], v[16:17], v[26:27]
	v_fma_f64 v[4:5], v[4:5], v[12:13], v[90:91]
	v_fma_f64 v[6:7], v[6:7], v[12:13], -v[14:15]
	v_lshl_add_u32 v12, v185, 4, v187
	v_add_u32_e32 v88, v187, v186
	ds_write_b128 v12, v[0:3]
	v_fma_f64 v[8:9], v[16:17], v[24:25], v[93:94]
	v_fma_f64 v[10:11], v[18:19], v[24:25], -v[26:27]
	s_waitcnt vmcnt(14)
	v_mul_f64 v[0:1], v[22:23], v[30:31]
	v_mul_f64 v[2:3], v[20:21], v[30:31]
	ds_write_b128 v88, v[4:7] offset:672
	ds_write_b128 v88, v[8:11] offset:1344
	v_fma_f64 v[0:1], v[20:21], v[28:29], v[0:1]
	v_fma_f64 v[2:3], v[22:23], v[28:29], -v[2:3]
	s_waitcnt vmcnt(11)
	v_mul_f64 v[4:5], v[34:35], v[42:43]
	v_mul_f64 v[6:7], v[32:33], v[42:43]
	s_waitcnt vmcnt(10)
	v_mul_f64 v[8:9], v[38:39], v[46:47]
	v_mul_f64 v[10:11], v[36:37], v[46:47]
	;; [unrolled: 3-line block ×3, first 2 shown]
	v_fma_f64 v[4:5], v[32:33], v[40:41], v[4:5]
	v_fma_f64 v[6:7], v[34:35], v[40:41], -v[6:7]
	v_fma_f64 v[8:9], v[36:37], v[44:45], v[8:9]
	s_waitcnt vmcnt(5)
	v_mul_f64 v[16:17], v[58:59], v[66:67]
	v_mul_f64 v[18:19], v[56:57], v[66:67]
	s_waitcnt vmcnt(4)
	v_mul_f64 v[20:21], v[62:63], v[70:71]
	v_mul_f64 v[22:23], v[60:61], v[70:71]
	v_fma_f64 v[10:11], v[38:39], v[44:45], -v[10:11]
	v_fma_f64 v[12:13], v[48:49], v[52:53], v[12:13]
	v_fma_f64 v[14:15], v[50:51], v[52:53], -v[14:15]
	s_waitcnt vmcnt(2)
	v_mul_f64 v[24:25], v[74:75], v[78:79]
	v_mul_f64 v[26:27], v[72:73], v[78:79]
	s_waitcnt vmcnt(0)
	v_mul_f64 v[28:29], v[82:83], v[86:87]
	v_mul_f64 v[30:31], v[80:81], v[86:87]
	v_fma_f64 v[16:17], v[56:57], v[64:65], v[16:17]
	v_fma_f64 v[18:19], v[58:59], v[64:65], -v[18:19]
	v_fma_f64 v[20:21], v[60:61], v[68:69], v[20:21]
	v_fma_f64 v[22:23], v[62:63], v[68:69], -v[22:23]
	v_fma_f64 v[24:25], v[72:73], v[76:77], v[24:25]
	v_fma_f64 v[26:27], v[74:75], v[76:77], -v[26:27]
	v_fma_f64 v[28:29], v[80:81], v[84:85], v[28:29]
	v_fma_f64 v[30:31], v[82:83], v[84:85], -v[30:31]
	ds_write_b128 v88, v[0:3] offset:2016
	ds_write_b128 v88, v[4:7] offset:2688
	;; [unrolled: 1-line block ×8, first 2 shown]
.LBB0_3:
	s_or_b64 exec, exec, s[14:15]
	s_load_dwordx2 s[2:3], s[4:5], 0x20
	s_load_dwordx2 s[14:15], s[4:5], 0x8
	s_waitcnt lgkmcnt(0)
	s_barrier
	s_waitcnt lgkmcnt(0)
                                        ; implicit-def: $vgpr16_vgpr17
                                        ; implicit-def: $vgpr20_vgpr21
                                        ; implicit-def: $vgpr24_vgpr25
                                        ; implicit-def: $vgpr28_vgpr29
                                        ; implicit-def: $vgpr32_vgpr33
                                        ; implicit-def: $vgpr36_vgpr37
                                        ; implicit-def: $vgpr40_vgpr41
                                        ; implicit-def: $vgpr44_vgpr45
                                        ; implicit-def: $vgpr48_vgpr49
                                        ; implicit-def: $vgpr52_vgpr53
                                        ; implicit-def: $vgpr56_vgpr57
	s_and_saveexec_b64 s[4:5], s[0:1]
	s_cbranch_execz .LBB0_5
; %bb.4:
	v_lshl_add_u32 v0, v188, 4, v186
	ds_read_b128 v[16:19], v0
	ds_read_b128 v[20:23], v0 offset:672
	ds_read_b128 v[24:27], v0 offset:1344
	;; [unrolled: 1-line block ×10, first 2 shown]
.LBB0_5:
	s_or_b64 exec, exec, s[4:5]
	s_waitcnt lgkmcnt(0)
	v_add_f64 v[4:5], v[22:23], -v[58:59]
	v_add_f64 v[6:7], v[20:21], -v[56:57]
	s_mov_b32 s20, 0xf8bb580b
	s_mov_b32 s21, 0xbfe14ced
	v_add_f64 v[88:89], v[20:21], v[56:57]
	v_add_f64 v[90:91], v[22:23], v[58:59]
	v_add_f64 v[8:9], v[26:27], -v[54:55]
	v_add_f64 v[10:11], v[24:25], -v[52:53]
	v_mul_f64 v[64:65], v[4:5], s[20:21]
	v_mul_f64 v[66:67], v[6:7], s[20:21]
	s_mov_b32 s8, 0x8764f0ba
	s_mov_b32 s9, 0x3feaeb8c
	;; [unrolled: 1-line block ×4, first 2 shown]
	v_add_f64 v[109:110], v[24:25], v[52:53]
	v_add_f64 v[111:112], v[26:27], v[54:55]
	v_fma_f64 v[0:1], v[88:89], s[8:9], v[64:65]
	v_fma_f64 v[2:3], v[90:91], s[8:9], -v[66:67]
	v_mul_f64 v[68:69], v[8:9], s[18:19]
	v_mul_f64 v[70:71], v[10:11], s[18:19]
	v_add_f64 v[12:13], v[30:31], -v[50:51]
	v_add_f64 v[14:15], v[28:29], -v[48:49]
	s_mov_b32 s4, 0xd9c712b6
	s_mov_b32 s22, 0x43842ef
	;; [unrolled: 1-line block ×4, first 2 shown]
	v_add_f64 v[0:1], v[16:17], v[0:1]
	v_add_f64 v[2:3], v[18:19], v[2:3]
	v_fma_f64 v[60:61], v[109:110], s[4:5], v[68:69]
	v_fma_f64 v[62:63], v[111:112], s[4:5], -v[70:71]
	v_add_f64 v[135:136], v[28:29], v[48:49]
	v_add_f64 v[137:138], v[30:31], v[50:51]
	v_mul_f64 v[72:73], v[12:13], s[22:23]
	v_mul_f64 v[74:75], v[14:15], s[22:23]
	v_add_f64 v[157:158], v[34:35], -v[46:47]
	v_add_f64 v[161:162], v[32:33], -v[44:45]
	s_mov_b32 s10, 0x640f44db
	s_mov_b32 s26, 0xbb3a28a1
	;; [unrolled: 1-line block ×4, first 2 shown]
	v_add_f64 v[0:1], v[60:61], v[0:1]
	v_add_f64 v[2:3], v[62:63], v[2:3]
	v_fma_f64 v[60:61], v[135:136], s[10:11], v[72:73]
	v_fma_f64 v[62:63], v[137:138], s[10:11], -v[74:75]
	v_add_f64 v[129:130], v[32:33], v[44:45]
	v_add_f64 v[125:126], v[34:35], v[46:47]
	v_mul_f64 v[76:77], v[157:158], s[26:27]
	v_mul_f64 v[78:79], v[161:162], s[26:27]
	v_add_f64 v[177:178], v[38:39], -v[42:43]
	v_add_f64 v[189:190], v[36:37], -v[40:41]
	v_mul_f64 v[84:85], v[4:5], s[18:19]
	s_mov_b32 s16, 0x7f775887
	s_mov_b32 s28, 0xfd768dbf
	;; [unrolled: 1-line block ×4, first 2 shown]
	v_add_f64 v[0:1], v[60:61], v[0:1]
	v_add_f64 v[2:3], v[62:63], v[2:3]
	v_fma_f64 v[60:61], v[129:130], s[16:17], v[76:77]
	v_fma_f64 v[62:63], v[125:126], s[16:17], -v[78:79]
	v_add_f64 v[123:124], v[36:37], v[40:41]
	v_add_f64 v[133:134], v[38:39], v[42:43]
	v_mul_f64 v[80:81], v[177:178], s[28:29]
	v_mul_f64 v[82:83], v[189:190], s[28:29]
	v_fma_f64 v[93:94], v[88:89], s[4:5], v[84:85]
	v_mul_f64 v[86:87], v[8:9], s[26:27]
	v_mul_f64 v[115:116], v[6:7], s[18:19]
	s_mov_b32 s24, 0x9bcd5057
	s_mov_b32 s25, 0xbfeeb42a
	v_add_f64 v[0:1], v[60:61], v[0:1]
	v_add_f64 v[2:3], v[62:63], v[2:3]
	v_fma_f64 v[60:61], v[123:124], s[24:25], v[80:81]
	v_fma_f64 v[62:63], v[133:134], s[24:25], -v[82:83]
	v_add_f64 v[95:96], v[16:17], v[93:94]
	v_fma_f64 v[99:100], v[109:110], s[16:17], v[86:87]
	v_fma_f64 v[101:102], v[90:91], s[4:5], -v[115:116]
	v_mul_f64 v[97:98], v[10:11], s[26:27]
	v_mul_f64 v[103:104], v[4:5], s[22:23]
	;; [unrolled: 1-line block ×3, first 2 shown]
	v_add_f64 v[0:1], v[60:61], v[0:1]
	v_add_f64 v[2:3], v[62:63], v[2:3]
	s_mov_b32 s31, 0x3fd207e7
	v_add_f64 v[60:61], v[99:100], v[95:96]
	v_add_f64 v[62:63], v[18:19], v[101:102]
	v_fma_f64 v[99:100], v[111:112], s[16:17], -v[97:98]
	s_mov_b32 s30, s28
	v_mul_f64 v[101:102], v[14:15], s[30:31]
	v_mul_f64 v[107:108], v[8:9], s[30:31]
	v_fma_f64 v[113:114], v[90:91], s[10:11], -v[141:142]
	v_mul_f64 v[143:144], v[10:11], s[30:31]
	s_mov_b32 s19, 0x3fed1bb4
	v_mul_f64 v[121:122], v[14:15], s[18:19]
	v_add_f64 v[62:63], v[99:100], v[62:63]
	v_fma_f64 v[99:100], v[88:89], s[10:11], v[103:104]
	v_fma_f64 v[117:118], v[137:138], s[24:25], -v[101:102]
	v_fma_f64 v[127:128], v[109:110], s[24:25], v[107:108]
	v_add_f64 v[131:132], v[18:19], v[113:114]
	v_fma_f64 v[139:140], v[111:112], s[24:25], -v[143:144]
	v_mul_f64 v[113:114], v[12:13], s[18:19]
	v_fma_f64 v[147:148], v[137:138], s[4:5], -v[121:122]
	v_mul_f64 v[155:156], v[6:7], s[26:27]
	v_add_f64 v[99:100], v[16:17], v[99:100]
	v_add_f64 v[62:63], v[117:118], v[62:63]
	v_mul_f64 v[117:118], v[157:158], s[20:21]
	s_mov_b32 s35, 0x3fefac9e
	v_add_f64 v[131:132], v[139:140], v[131:132]
	v_fma_f64 v[139:140], v[135:136], s[4:5], v[113:114]
	s_mov_b32 s34, s22
	v_mul_f64 v[93:94], v[12:13], s[30:31]
	v_add_f64 v[145:146], v[127:128], v[99:100]
	v_mul_f64 v[127:128], v[161:162], s[20:21]
	v_fma_f64 v[151:152], v[129:130], s[8:9], v[117:118]
	v_mul_f64 v[169:170], v[4:5], s[28:29]
	v_add_f64 v[147:148], v[147:148], v[131:132]
	v_mul_f64 v[181:182], v[6:7], s[28:29]
	s_mov_b32 s31, 0x3fe14ced
	s_mov_b32 s30, s20
	v_add_f64 v[149:150], v[139:140], v[145:146]
	v_mul_f64 v[145:146], v[4:5], s[26:27]
	v_fma_f64 v[153:154], v[125:126], s[8:9], -v[127:128]
	v_fma_f64 v[105:106], v[135:136], s[24:25], v[93:94]
	v_mul_f64 v[95:96], v[157:158], s[34:35]
	v_mul_f64 v[163:164], v[14:15], s[20:21]
	v_fma_f64 v[165:166], v[88:89], s[24:25], v[169:170]
	v_mul_f64 v[173:174], v[8:9], s[30:31]
	v_add_f64 v[195:196], v[151:152], v[149:150]
	v_fma_f64 v[149:150], v[88:89], s[16:17], v[145:146]
	v_add_f64 v[197:198], v[153:154], v[147:148]
	v_mul_f64 v[147:148], v[8:9], s[34:35]
	v_fma_f64 v[151:152], v[90:91], s[16:17], -v[155:156]
	v_mul_f64 v[153:154], v[10:11], s[34:35]
	v_fma_f64 v[8:9], v[90:91], s[24:25], -v[181:182]
	v_mul_f64 v[183:184], v[10:11], s[30:31]
	v_add_f64 v[60:61], v[105:106], v[60:61]
	v_add_f64 v[4:5], v[16:17], v[149:150]
	v_mul_f64 v[149:150], v[12:13], s[20:21]
	v_fma_f64 v[6:7], v[109:110], s[10:11], v[147:148]
	v_add_f64 v[151:152], v[18:19], v[151:152]
	v_fma_f64 v[159:160], v[111:112], s[10:11], -v[153:154]
	v_fma_f64 v[119:120], v[129:130], s[10:11], v[95:96]
	v_mul_f64 v[105:106], v[161:162], s[34:35]
	v_add_f64 v[167:168], v[16:17], v[165:166]
	v_fma_f64 v[171:172], v[109:110], s[8:9], v[173:174]
	v_fma_f64 v[10:11], v[135:136], s[8:9], v[149:150]
	v_add_f64 v[4:5], v[6:7], v[4:5]
	v_add_f64 v[8:9], v[18:19], v[8:9]
	;; [unrolled: 1-line block ×3, first 2 shown]
	v_fma_f64 v[151:152], v[137:138], s[8:9], -v[163:164]
	v_fma_f64 v[175:176], v[111:112], s[8:9], -v[183:184]
	v_mul_f64 v[159:160], v[12:13], s[26:27]
	v_mul_f64 v[179:180], v[14:15], s[26:27]
	v_add_f64 v[60:61], v[119:120], v[60:61]
	v_fma_f64 v[119:120], v[125:126], s[10:11], -v[105:106]
	v_add_f64 v[4:5], v[10:11], v[4:5]
	v_mul_f64 v[165:166], v[161:162], s[28:29]
	v_add_f64 v[6:7], v[151:152], v[6:7]
	v_mul_f64 v[151:152], v[157:158], s[28:29]
	v_add_f64 v[10:11], v[171:172], v[167:168]
	v_add_f64 v[8:9], v[175:176], v[8:9]
	v_fma_f64 v[12:13], v[135:136], s[16:17], v[159:160]
	v_fma_f64 v[14:15], v[137:138], s[16:17], -v[179:180]
	v_mul_f64 v[167:168], v[157:158], s[18:19]
	v_mul_f64 v[175:176], v[161:162], s[18:19]
	;; [unrolled: 1-line block ×3, first 2 shown]
	v_add_f64 v[62:63], v[119:120], v[62:63]
	v_mul_f64 v[119:120], v[189:190], s[30:31]
	v_mul_f64 v[131:132], v[177:178], s[26:27]
	;; [unrolled: 1-line block ×3, first 2 shown]
	v_fma_f64 v[203:204], v[129:130], s[24:25], v[151:152]
	v_fma_f64 v[205:206], v[125:126], s[24:25], -v[165:166]
	v_mul_f64 v[157:158], v[177:178], s[18:19]
	v_mul_f64 v[171:172], v[189:190], s[18:19]
	v_add_f64 v[10:11], v[12:13], v[10:11]
	v_add_f64 v[8:9], v[14:15], v[8:9]
	v_fma_f64 v[12:13], v[129:130], s[4:5], v[167:168]
	v_fma_f64 v[14:15], v[125:126], s[4:5], -v[175:176]
	v_mul_f64 v[161:162], v[177:178], s[22:23]
	v_mul_f64 v[177:178], v[189:190], s[22:23]
	v_fma_f64 v[191:192], v[123:124], s[8:9], v[99:100]
	v_fma_f64 v[193:194], v[133:134], s[8:9], -v[119:120]
	v_fma_f64 v[199:200], v[123:124], s[16:17], v[131:132]
	v_fma_f64 v[201:202], v[133:134], s[16:17], -v[139:140]
	v_add_f64 v[4:5], v[203:204], v[4:5]
	v_add_f64 v[6:7], v[205:206], v[6:7]
	v_fma_f64 v[189:190], v[123:124], s[4:5], v[157:158]
	v_fma_f64 v[203:204], v[133:134], s[4:5], -v[171:172]
	v_add_f64 v[205:206], v[12:13], v[10:11]
	v_add_f64 v[207:208], v[14:15], v[8:9]
	;; [unrolled: 4-line block ×3, first 2 shown]
	v_add_f64 v[8:9], v[199:200], v[195:196]
	v_add_f64 v[10:11], v[201:202], v[197:198]
	v_add_f64 v[4:5], v[189:190], v[4:5]
	v_add_f64 v[6:7], v[203:204], v[6:7]
	v_add_f64 v[60:61], v[209:210], v[205:206]
	v_add_f64 v[62:63], v[211:212], v[207:208]
	v_mul_lo_u16_e32 v189, 11, v185
	s_barrier
	s_and_saveexec_b64 s[18:19], s[0:1]
	s_cbranch_execz .LBB0_7
; %bb.6:
	v_mul_f64 v[192:193], v[90:91], s[8:9]
	v_mul_f64 v[196:197], v[90:91], s[4:5]
	;; [unrolled: 1-line block ×15, first 2 shown]
	v_add_f64 v[90:91], v[181:182], v[90:91]
	v_add_f64 v[155:156], v[155:156], v[204:205]
	v_add_f64 v[22:23], v[18:19], v[22:23]
	v_add_f64 v[20:21], v[16:17], v[20:21]
	v_mul_f64 v[206:207], v[109:110], s[4:5]
	v_mul_f64 v[210:211], v[109:110], s[16:17]
	;; [unrolled: 1-line block ×10, first 2 shown]
	v_add_f64 v[111:112], v[183:184], v[111:112]
	v_add_f64 v[90:91], v[18:19], v[90:91]
	v_add_f64 v[88:89], v[88:89], -v[169:170]
	v_add_f64 v[153:154], v[153:154], v[220:221]
	v_add_f64 v[155:156], v[18:19], v[155:156]
	;; [unrolled: 1-line block ×4, first 2 shown]
	v_mul_f64 v[222:223], v[135:136], s[10:11]
	v_mul_f64 v[226:227], v[135:136], s[24:25]
	;; [unrolled: 1-line block ×10, first 2 shown]
	v_add_f64 v[137:138], v[179:180], v[137:138]
	v_add_f64 v[90:91], v[111:112], v[90:91]
	v_add_f64 v[109:110], v[109:110], -v[173:174]
	v_add_f64 v[163:164], v[163:164], v[236:237]
	v_add_f64 v[88:89], v[16:17], v[88:89]
	v_add_f64 v[145:146], v[202:203], -v[145:146]
	v_add_f64 v[153:154], v[153:154], v[155:156]
	v_add_f64 v[22:23], v[22:23], v[30:31]
	;; [unrolled: 1-line block ×3, first 2 shown]
	v_mul_f64 v[238:239], v[129:130], s[16:17]
	v_mul_f64 v[242:243], v[129:130], s[10:11]
	;; [unrolled: 1-line block ×10, first 2 shown]
	v_add_f64 v[125:126], v[175:176], v[125:126]
	v_add_f64 v[90:91], v[137:138], v[90:91]
	v_add_f64 v[135:136], v[135:136], -v[159:160]
	v_add_f64 v[88:89], v[109:110], v[88:89]
	v_add_f64 v[109:110], v[165:166], v[204:205]
	v_add_f64 v[137:138], v[218:219], -v[147:148]
	v_add_f64 v[145:146], v[16:17], v[145:146]
	v_add_f64 v[147:148], v[163:164], v[153:154]
	v_add_f64 v[22:23], v[22:23], v[34:35]
	v_add_f64 v[20:21], v[20:21], v[32:33]
	v_add_f64 v[133:134], v[177:178], v[133:134]
	v_add_f64 v[90:91], v[125:126], v[90:91]
	v_add_f64 v[125:126], v[129:130], -v[167:168]
	v_add_f64 v[129:130], v[135:136], v[88:89]
	v_add_f64 v[135:136], v[171:172], v[202:203]
	v_add_f64 v[149:150], v[234:235], -v[149:150]
	v_add_f64 v[137:138], v[137:138], v[145:146]
	v_add_f64 v[109:110], v[109:110], v[147:148]
	;; [unrolled: 1-line block ×7, first 2 shown]
	v_add_f64 v[36:37], v[190:191], -v[64:65]
	v_add_f64 v[103:104], v[198:199], -v[103:104]
	;; [unrolled: 1-line block ×3, first 2 shown]
	v_add_f64 v[88:89], v[133:134], v[90:91]
	v_add_f64 v[125:126], v[125:126], v[129:130]
	v_add_f64 v[129:130], v[183:184], -v[151:152]
	v_add_f64 v[133:134], v[149:150], v[137:138]
	v_add_f64 v[109:110], v[135:136], v[109:110]
	;; [unrolled: 1-line block ×10, first 2 shown]
	v_add_f64 v[66:67], v[206:207], -v[68:69]
	v_add_f64 v[36:37], v[16:17], v[36:37]
	v_add_f64 v[103:104], v[16:17], v[103:104]
	v_add_f64 v[64:65], v[210:211], -v[86:87]
	v_add_f64 v[16:17], v[16:17], v[38:39]
	v_add_f64 v[26:27], v[214:215], -v[107:108]
	v_add_f64 v[129:130], v[129:130], v[133:134]
	v_add_f64 v[121:122], v[121:122], v[232:233]
	v_add_f64 v[133:134], v[135:136], v[137:138]
	v_add_f64 v[101:102], v[101:102], v[228:229]
	v_add_f64 v[97:98], v[97:98], v[115:116]
	v_add_f64 v[22:23], v[22:23], v[46:47]
	v_add_f64 v[20:21], v[20:21], v[44:45]
	v_add_f64 v[40:41], v[74:75], v[224:225]
	v_add_f64 v[18:19], v[70:71], v[18:19]
	v_add_f64 v[42:43], v[222:223], -v[72:73]
	v_add_f64 v[36:37], v[66:67], v[36:37]
	v_add_f64 v[38:39], v[226:227], -v[93:94]
	v_add_f64 v[16:17], v[64:65], v[16:17]
	;; [unrolled: 2-line block ×3, first 2 shown]
	v_add_f64 v[24:25], v[127:128], v[246:247]
	v_add_f64 v[107:108], v[121:122], v[133:134]
	;; [unrolled: 1-line block ×6, first 2 shown]
	v_mul_f64 v[179:180], v[123:124], s[24:25]
	v_add_f64 v[46:47], v[78:79], v[240:241]
	v_add_f64 v[18:19], v[40:41], v[18:19]
	v_add_f64 v[40:41], v[238:239], -v[76:77]
	v_add_f64 v[36:37], v[42:43], v[36:37]
	v_mul_f64 v[220:221], v[123:124], s[8:9]
	v_add_f64 v[44:45], v[242:243], -v[95:96]
	v_add_f64 v[16:17], v[38:39], v[16:17]
	v_mul_f64 v[173:174], v[123:124], s[16:17]
	;; [unrolled: 3-line block ×3, first 2 shown]
	v_mul_f64 v[123:124], v[123:124], s[4:5]
	v_add_f64 v[28:29], v[139:140], v[236:237]
	v_add_f64 v[24:25], v[24:25], v[107:108]
	;; [unrolled: 1-line block ×8, first 2 shown]
	v_add_f64 v[48:49], v[179:180], -v[80:81]
	v_add_f64 v[36:37], v[40:41], v[36:37]
	v_add_f64 v[38:39], v[220:221], -v[99:100]
	v_add_f64 v[16:17], v[44:45], v[16:17]
	;; [unrolled: 2-line block ×3, first 2 shown]
	v_add_f64 v[123:124], v[123:124], -v[157:158]
	v_add_f64 v[90:91], v[155:156], -v[161:162]
	v_add_f64 v[18:19], v[28:29], v[24:25]
	v_add_f64 v[22:23], v[30:31], v[97:98]
	;; [unrolled: 1-line block ×10, first 2 shown]
	v_add_lshl_u32 v32, v188, v189, 4
	ds_write_b128 v32, v[28:31]
	ds_write_b128 v32, v[24:27] offset:16
	ds_write_b128 v32, v[20:23] offset:32
	;; [unrolled: 1-line block ×10, first 2 shown]
.LBB0_7:
	s_or_b64 exec, exec, s[18:19]
	s_load_dwordx4 s[8:11], s[2:3], 0x0
	s_movk_i32 s2, 0x75
	v_mul_lo_u16_sdwa v16, v185, s2 dst_sel:DWORD dst_unused:UNUSED_PAD src0_sel:BYTE_0 src1_sel:DWORD
	v_sub_u16_sdwa v17, v185, v16 dst_sel:DWORD dst_unused:UNUSED_PAD src0_sel:DWORD src1_sel:BYTE_1
	v_lshrrev_b16_e32 v17, 1, v17
	v_and_b32_e32 v17, 0x7f, v17
	v_add_u16_sdwa v16, v17, v16 dst_sel:DWORD dst_unused:UNUSED_PAD src0_sel:DWORD src1_sel:BYTE_1
	v_lshrrev_b16_e32 v64, 3, v16
	v_mul_lo_u16_e32 v16, 11, v64
	v_sub_u16_e32 v16, v185, v16
	v_and_b32_e32 v65, 0xff, v16
	v_mov_b32_e32 v17, s15
	s_movk_i32 s2, 0x50
	v_mov_b32_e32 v16, s14
	v_mad_u64_u32 v[36:37], s[2:3], v65, s2, v[16:17]
	s_waitcnt lgkmcnt(0)
	s_barrier
	global_load_dwordx4 v[16:19], v[36:37], off
	global_load_dwordx4 v[24:27], v[36:37], off offset:16
	global_load_dwordx4 v[20:23], v[36:37], off offset:32
	;; [unrolled: 1-line block ×4, first 2 shown]
	v_add_lshl_u32 v153, v188, v185, 4
	ds_read_b128 v[36:39], v153
	ds_read_b128 v[40:43], v153 offset:1232
	ds_read_b128 v[44:47], v153 offset:2464
	;; [unrolled: 1-line block ×5, first 2 shown]
	v_mul_u32_u24_e32 v64, 0x42, v64
	v_add_u32_e32 v64, v64, v65
	v_add_lshl_u32 v154, v188, v64, 4
	s_mov_b32 s2, 0xe8584caa
	s_mov_b32 s3, 0x3febb67a
	;; [unrolled: 1-line block ×4, first 2 shown]
	s_movk_i32 s16, 0x42
	s_waitcnt vmcnt(0) lgkmcnt(0)
	s_barrier
	v_mul_f64 v[64:65], v[42:43], v[18:19]
	v_mul_f64 v[66:67], v[40:41], v[18:19]
	;; [unrolled: 1-line block ×10, first 2 shown]
	v_fma_f64 v[48:49], v[48:49], v[20:21], -v[70:71]
	v_fma_f64 v[50:51], v[50:51], v[20:21], v[72:73]
	v_fma_f64 v[58:59], v[58:59], v[28:29], v[74:75]
	v_fma_f64 v[56:57], v[56:57], v[28:29], -v[76:77]
	v_fma_f64 v[44:45], v[44:45], v[24:25], -v[68:69]
	;; [unrolled: 1-line block ×3, first 2 shown]
	v_fma_f64 v[42:43], v[42:43], v[16:17], v[66:67]
	v_fma_f64 v[46:47], v[46:47], v[24:25], v[78:79]
	v_fma_f64 v[52:53], v[52:53], v[32:33], -v[80:81]
	v_fma_f64 v[54:55], v[54:55], v[32:33], v[82:83]
	v_add_f64 v[64:65], v[50:51], v[58:59]
	v_add_f64 v[66:67], v[48:49], v[56:57]
	;; [unrolled: 1-line block ×3, first 2 shown]
	v_add_f64 v[76:77], v[50:51], -v[58:59]
	v_add_f64 v[78:79], v[48:49], -v[56:57]
	v_add_f64 v[74:75], v[38:39], v[46:47]
	v_add_f64 v[70:71], v[44:45], v[52:53]
	v_add_f64 v[72:73], v[46:47], -v[54:55]
	v_fma_f64 v[64:65], v[64:65], -0.5, v[42:43]
	v_fma_f64 v[66:67], v[66:67], -0.5, v[40:41]
	v_add_f64 v[46:47], v[46:47], v[54:55]
	v_add_f64 v[44:45], v[44:45], -v[52:53]
	v_add_f64 v[40:41], v[40:41], v[48:49]
	v_add_f64 v[42:43], v[42:43], v[50:51]
	;; [unrolled: 1-line block ×3, first 2 shown]
	v_fma_f64 v[36:37], v[70:71], -0.5, v[36:37]
	v_fma_f64 v[50:51], v[78:79], s[4:5], v[64:65]
	v_fma_f64 v[52:53], v[76:77], s[4:5], v[66:67]
	;; [unrolled: 1-line block ×4, first 2 shown]
	v_fma_f64 v[38:39], v[46:47], -0.5, v[38:39]
	v_add_f64 v[40:41], v[40:41], v[56:57]
	v_add_f64 v[42:43], v[42:43], v[58:59]
	v_add_f64 v[54:55], v[74:75], v[54:55]
	v_mul_f64 v[46:47], v[50:51], s[2:3]
	v_mul_f64 v[56:57], v[52:53], -0.5
	v_mul_f64 v[58:59], v[66:67], s[4:5]
	v_mul_f64 v[68:69], v[64:65], -0.5
	v_fma_f64 v[80:81], v[72:73], s[2:3], v[36:37]
	v_fma_f64 v[36:37], v[72:73], s[4:5], v[36:37]
	;; [unrolled: 1-line block ×4, first 2 shown]
	v_fma_f64 v[44:45], v[66:67], 0.5, v[46:47]
	v_fma_f64 v[46:47], v[64:65], s[2:3], v[56:57]
	v_fma_f64 v[50:51], v[50:51], 0.5, v[58:59]
	v_fma_f64 v[52:53], v[52:53], s[4:5], v[68:69]
	v_add_f64 v[64:65], v[48:49], v[40:41]
	v_add_f64 v[66:67], v[54:55], v[42:43]
	v_add_f64 v[76:77], v[48:49], -v[40:41]
	v_add_f64 v[78:79], v[54:55], -v[42:43]
	v_add_f64 v[68:69], v[80:81], v[44:45]
	v_add_f64 v[72:73], v[36:37], v[46:47]
	;; [unrolled: 1-line block ×4, first 2 shown]
	v_add_f64 v[80:81], v[80:81], -v[44:45]
	v_add_f64 v[84:85], v[36:37], -v[46:47]
	;; [unrolled: 1-line block ×4, first 2 shown]
	v_cmp_gt_u16_e64 s[2:3], s16, v185
	ds_write_b128 v154, v[64:67]
	ds_write_b128 v154, v[76:79] offset:528
	ds_write_b128 v154, v[68:71] offset:176
	;; [unrolled: 1-line block ×5, first 2 shown]
	s_waitcnt lgkmcnt(0)
	s_barrier
	s_and_saveexec_b64 s[4:5], s[2:3]
	s_cbranch_execz .LBB0_9
; %bb.8:
	ds_read_b128 v[64:67], v153
	ds_read_b128 v[68:71], v153 offset:1056
	ds_read_b128 v[72:75], v153 offset:2112
	;; [unrolled: 1-line block ×6, first 2 shown]
.LBB0_9:
	s_or_b64 exec, exec, s[4:5]
	v_add_u32_e32 v36, 0xffffffbe, v185
	v_cndmask_b32_e64 v36, v36, v185, s[2:3]
	v_mul_hi_i32_i24_e32 v37, 0x60, v36
	v_mul_i32_i24_e32 v36, 0x60, v36
	v_mov_b32_e32 v38, s15
	v_add_co_u32_e32 v88, vcc, s14, v36
	v_addc_co_u32_e32 v89, vcc, v38, v37, vcc
	global_load_dwordx4 v[44:47], v[88:89], off offset:880
	global_load_dwordx4 v[48:51], v[88:89], off offset:896
	global_load_dwordx4 v[40:43], v[88:89], off offset:912
	global_load_dwordx4 v[36:39], v[88:89], off offset:928
	global_load_dwordx4 v[52:55], v[88:89], off offset:960
	global_load_dwordx4 v[56:59], v[88:89], off offset:944
	s_mov_b32 s14, 0x37e14327
	s_mov_b32 s4, 0x36b3c0b5
	;; [unrolled: 1-line block ×16, first 2 shown]
	s_waitcnt vmcnt(5) lgkmcnt(5)
	v_mul_f64 v[88:89], v[70:71], v[46:47]
	v_mul_f64 v[90:91], v[68:69], v[46:47]
	s_waitcnt vmcnt(4) lgkmcnt(4)
	v_mul_f64 v[93:94], v[74:75], v[50:51]
	v_mul_f64 v[95:96], v[72:73], v[50:51]
	;; [unrolled: 3-line block ×3, first 2 shown]
	s_waitcnt vmcnt(0)
	v_mul_f64 v[109:110], v[86:87], v[58:59]
	v_mul_f64 v[111:112], v[84:85], v[58:59]
	;; [unrolled: 1-line block ×6, first 2 shown]
	v_fma_f64 v[68:69], v[68:69], v[44:45], -v[88:89]
	v_fma_f64 v[70:71], v[70:71], v[44:45], v[90:91]
	v_fma_f64 v[72:73], v[72:73], v[48:49], -v[93:94]
	v_fma_f64 v[74:75], v[74:75], v[48:49], v[95:96]
	;; [unrolled: 2-line block ×6, first 2 shown]
	v_add_f64 v[88:89], v[68:69], v[60:61]
	v_add_f64 v[90:91], v[70:71], v[62:63]
	v_add_f64 v[60:61], v[68:69], -v[60:61]
	v_add_f64 v[62:63], v[70:71], -v[62:63]
	v_add_f64 v[68:69], v[72:73], v[84:85]
	v_add_f64 v[70:71], v[74:75], v[86:87]
	v_add_f64 v[72:73], v[72:73], -v[84:85]
	v_add_f64 v[74:75], v[74:75], -v[86:87]
	;; [unrolled: 4-line block ×4, first 2 shown]
	v_add_f64 v[88:89], v[88:89], -v[84:85]
	v_add_f64 v[90:91], v[90:91], -v[86:87]
	;; [unrolled: 1-line block ×4, first 2 shown]
	v_add_f64 v[97:98], v[76:77], v[72:73]
	v_add_f64 v[99:100], v[78:79], v[74:75]
	v_add_f64 v[101:102], v[76:77], -v[72:73]
	v_add_f64 v[103:104], v[78:79], -v[74:75]
	;; [unrolled: 1-line block ×4, first 2 shown]
	v_add_f64 v[80:81], v[84:85], v[80:81]
	v_add_f64 v[82:83], v[86:87], v[82:83]
	v_add_f64 v[76:77], v[60:61], -v[76:77]
	v_add_f64 v[78:79], v[62:63], -v[78:79]
	v_add_f64 v[84:85], v[97:98], v[60:61]
	v_add_f64 v[86:87], v[99:100], v[62:63]
	v_mul_f64 v[88:89], v[88:89], s[14:15]
	v_mul_f64 v[90:91], v[90:91], s[14:15]
	;; [unrolled: 1-line block ×8, first 2 shown]
	v_add_f64 v[60:61], v[64:65], v[80:81]
	v_add_f64 v[62:63], v[66:67], v[82:83]
	v_fma_f64 v[64:65], v[68:69], s[4:5], v[88:89]
	v_fma_f64 v[66:67], v[70:71], s[4:5], v[90:91]
	v_fma_f64 v[68:69], v[93:94], s[22:23], -v[97:98]
	v_fma_f64 v[70:71], v[95:96], s[22:23], -v[99:100]
	s_mov_b32 s23, 0xbfe77f67
	v_fma_f64 v[97:98], v[76:77], s[24:25], v[101:102]
	v_fma_f64 v[99:100], v[78:79], s[24:25], v[103:104]
	s_mov_b32 s25, 0xbfd5d0dc
	v_fma_f64 v[72:73], v[72:73], s[16:17], -v[101:102]
	v_fma_f64 v[74:75], v[74:75], s[16:17], -v[103:104]
	;; [unrolled: 1-line block ×6, first 2 shown]
	v_fma_f64 v[80:81], v[80:81], s[18:19], v[60:61]
	v_fma_f64 v[82:83], v[82:83], s[18:19], v[62:63]
	v_fma_f64 v[93:94], v[84:85], s[26:27], v[97:98]
	v_fma_f64 v[95:96], v[86:87], s[26:27], v[99:100]
	v_fma_f64 v[97:98], v[84:85], s[26:27], v[72:73]
	v_fma_f64 v[99:100], v[86:87], s[26:27], v[74:75]
	v_fma_f64 v[84:85], v[84:85], s[26:27], v[76:77]
	v_fma_f64 v[86:87], v[86:87], s[26:27], v[78:79]
	v_add_f64 v[101:102], v[64:65], v[80:81]
	v_add_f64 v[103:104], v[66:67], v[82:83]
	;; [unrolled: 1-line block ×7, first 2 shown]
	v_add_f64 v[66:67], v[103:104], -v[93:94]
	v_add_f64 v[68:69], v[86:87], v[88:89]
	v_add_f64 v[70:71], v[90:91], -v[84:85]
	v_add_f64 v[72:73], v[76:77], -v[99:100]
	v_add_f64 v[74:75], v[97:98], v[78:79]
	v_add_f64 v[76:77], v[99:100], v[76:77]
	v_add_f64 v[78:79], v[78:79], -v[97:98]
	v_add_f64 v[80:81], v[88:89], -v[86:87]
	v_add_f64 v[82:83], v[84:85], v[90:91]
	v_add_f64 v[84:85], v[101:102], -v[95:96]
	v_add_f64 v[86:87], v[93:94], v[103:104]
	s_and_saveexec_b64 s[4:5], s[2:3]
	s_cbranch_execz .LBB0_11
; %bb.10:
	v_lshl_add_u32 v88, v188, 4, v186
	ds_write_b128 v88, v[60:63]
	ds_write_b128 v88, v[64:67] offset:1056
	ds_write_b128 v88, v[68:71] offset:2112
	;; [unrolled: 1-line block ×6, first 2 shown]
.LBB0_11:
	s_or_b64 exec, exec, s[4:5]
	s_waitcnt lgkmcnt(0)
	s_barrier
	s_and_saveexec_b64 s[14:15], s[0:1]
	s_cbranch_execz .LBB0_13
; %bb.12:
	v_mov_b32_e32 v88, s13
	v_add_co_u32_e32 v121, vcc, s12, v186
	v_addc_co_u32_e32 v122, vcc, 0, v88, vcc
	v_add_co_u32_e32 v113, vcc, 0x1ce0, v121
	s_mov_b64 s[4:5], vcc
	v_add_co_u32_e32 v88, vcc, 0x1000, v121
	v_addc_co_u32_e32 v89, vcc, 0, v122, vcc
	global_load_dwordx4 v[88:91], v[88:89], off offset:3296
	v_addc_co_u32_e64 v114, vcc, 0, v122, s[4:5]
	global_load_dwordx4 v[93:96], v[113:114], off offset:672
	global_load_dwordx4 v[97:100], v[113:114], off offset:1344
	;; [unrolled: 1-line block ×3, first 2 shown]
	s_movk_i32 s16, 0x2000
	v_add_co_u32_e32 v117, vcc, s16, v121
	s_movk_i32 s17, 0x3000
	v_addc_co_u32_e32 v118, vcc, 0, v122, vcc
	global_load_dwordx4 v[105:108], v[113:114], off offset:2688
	global_load_dwordx4 v[109:112], v[113:114], off offset:3360
	s_nop 0
	global_load_dwordx4 v[113:116], v[113:114], off offset:4032
	s_nop 0
	global_load_dwordx4 v[117:120], v[117:118], off offset:3904
	v_add_co_u32_e32 v129, vcc, s17, v121
	v_addc_co_u32_e32 v130, vcc, 0, v122, vcc
	global_load_dwordx4 v[121:124], v[129:130], off offset:480
	global_load_dwordx4 v[125:128], v[129:130], off offset:1152
	s_nop 0
	global_load_dwordx4 v[129:132], v[129:130], off offset:1824
	v_lshl_add_u32 v139, v185, 4, v187
	ds_read_b128 v[133:136], v139
	v_add_u32_e32 v196, v187, v186
	s_waitcnt vmcnt(10) lgkmcnt(0)
	v_mul_f64 v[137:138], v[135:136], v[90:91]
	v_mul_f64 v[90:91], v[133:134], v[90:91]
	v_fma_f64 v[133:134], v[133:134], v[88:89], -v[137:138]
	v_fma_f64 v[135:136], v[135:136], v[88:89], v[90:91]
	ds_write_b128 v139, v[133:136]
	ds_read_b128 v[88:91], v196 offset:672
	ds_read_b128 v[133:136], v196 offset:1344
	;; [unrolled: 1-line block ×10, first 2 shown]
	s_waitcnt vmcnt(9) lgkmcnt(9)
	v_mul_f64 v[171:172], v[90:91], v[95:96]
	v_mul_f64 v[95:96], v[88:89], v[95:96]
	s_waitcnt vmcnt(8) lgkmcnt(8)
	v_mul_f64 v[173:174], v[135:136], v[99:100]
	v_mul_f64 v[99:100], v[133:134], v[99:100]
	;; [unrolled: 3-line block ×10, first 2 shown]
	v_fma_f64 v[88:89], v[88:89], v[93:94], -v[171:172]
	v_fma_f64 v[90:91], v[90:91], v[93:94], v[95:96]
	v_fma_f64 v[93:94], v[133:134], v[97:98], -v[173:174]
	v_fma_f64 v[95:96], v[135:136], v[97:98], v[99:100]
	;; [unrolled: 2-line block ×10, first 2 shown]
	ds_write_b128 v196, v[88:91] offset:672
	ds_write_b128 v196, v[93:96] offset:1344
	;; [unrolled: 1-line block ×10, first 2 shown]
.LBB0_13:
	s_or_b64 exec, exec, s[14:15]
	s_waitcnt lgkmcnt(0)
	s_barrier
	s_and_saveexec_b64 s[4:5], s[0:1]
	s_cbranch_execz .LBB0_15
; %bb.14:
	v_lshl_add_u32 v0, v188, 4, v186
	ds_read_b128 v[60:63], v0
	ds_read_b128 v[64:67], v0 offset:672
	ds_read_b128 v[68:71], v0 offset:1344
	;; [unrolled: 1-line block ×10, first 2 shown]
.LBB0_15:
	s_or_b64 exec, exec, s[4:5]
	s_waitcnt lgkmcnt(0)
	v_add_f64 v[95:96], v[66:67], v[2:3]
	s_mov_b32 s4, 0x9bcd5057
	s_mov_b32 s5, 0xbfeeb42a
	v_add_f64 v[97:98], v[66:67], -v[2:3]
	v_add_f64 v[127:128], v[64:65], -v[0:1]
	v_add_f64 v[101:102], v[70:71], v[14:15]
	s_mov_b32 s14, 0xfd768dbf
	s_mov_b32 s20, 0x8764f0ba
	v_mul_f64 v[145:146], v[95:96], s[4:5]
	s_mov_b32 s15, 0xbfd207e7
	s_mov_b32 s21, 0x3feaeb8c
	v_add_f64 v[93:94], v[64:65], v[0:1]
	v_mul_f64 v[133:134], v[97:98], s[14:15]
	v_add_f64 v[103:104], v[70:71], -v[14:15]
	v_add_f64 v[113:114], v[68:69], -v[12:13]
	v_mul_f64 v[141:142], v[101:102], s[20:21]
	v_fma_f64 v[90:91], v[127:128], s[14:15], v[145:146]
	v_add_f64 v[107:108], v[74:75], v[10:11]
	s_mov_b32 s34, 0xf8bb580b
	s_mov_b32 s18, 0x7f775887
	;; [unrolled: 1-line block ×4, first 2 shown]
	v_add_f64 v[99:100], v[68:69], v[12:13]
	v_fma_f64 v[88:89], v[93:94], s[4:5], -v[133:134]
	v_mul_f64 v[135:136], v[103:104], s[34:35]
	v_add_f64 v[90:91], v[62:63], v[90:91]
	v_fma_f64 v[115:116], v[113:114], s[34:35], v[141:142]
	v_add_f64 v[109:110], v[74:75], -v[10:11]
	v_add_f64 v[121:122], v[72:73], -v[8:9]
	v_mul_f64 v[139:140], v[107:108], s[18:19]
	s_mov_b32 s22, 0xbb3a28a1
	s_mov_b32 s23, 0xbfe82f19
	v_fma_f64 v[111:112], v[99:100], s[20:21], -v[135:136]
	v_add_f64 v[88:89], v[60:61], v[88:89]
	v_add_f64 v[105:106], v[72:73], v[8:9]
	v_mul_f64 v[137:138], v[109:110], s[22:23]
	v_add_f64 v[90:91], v[115:116], v[90:91]
	v_fma_f64 v[119:120], v[121:122], s[22:23], v[139:140]
	v_add_f64 v[123:124], v[78:79], -v[6:7]
	v_add_f64 v[115:116], v[78:79], v[6:7]
	s_mov_b32 s24, 0xd9c712b6
	s_mov_b32 s25, 0x3fda9628
	s_mov_b32 s29, 0x3fed1bb4
	s_mov_b32 s28, 0x8eee2c13
	v_add_f64 v[88:89], v[111:112], v[88:89]
	v_fma_f64 v[117:118], v[105:106], s[18:19], -v[137:138]
	v_add_f64 v[111:112], v[76:77], v[4:5]
	v_add_f64 v[125:126], v[76:77], -v[4:5]
	v_mul_f64 v[143:144], v[123:124], s[28:29]
	v_mul_f64 v[147:148], v[115:116], s[24:25]
	v_add_f64 v[90:91], v[119:120], v[90:91]
	v_add_f64 v[129:130], v[82:83], -v[86:87]
	v_add_f64 v[119:120], v[82:83], v[86:87]
	s_mov_b32 s26, 0x640f44db
	s_mov_b32 s30, 0x43842ef
	;; [unrolled: 1-line block ×4, first 2 shown]
	v_add_f64 v[88:89], v[117:118], v[88:89]
	v_fma_f64 v[155:156], v[111:112], s[24:25], -v[143:144]
	v_fma_f64 v[157:158], v[125:126], s[28:29], v[147:148]
	v_add_f64 v[117:118], v[80:81], v[84:85]
	v_add_f64 v[131:132], v[80:81], -v[84:85]
	v_mul_f64 v[149:150], v[129:130], s[30:31]
	v_mul_f64 v[151:152], v[119:120], s[26:27]
	s_barrier
	v_add_f64 v[88:89], v[155:156], v[88:89]
	v_add_f64 v[90:91], v[157:158], v[90:91]
	v_fma_f64 v[155:156], v[117:118], s[26:27], -v[149:150]
	v_fma_f64 v[157:158], v[131:132], s[30:31], v[151:152]
	v_add_f64 v[88:89], v[155:156], v[88:89]
	v_add_f64 v[90:91], v[157:158], v[90:91]
	s_and_saveexec_b64 s[16:17], s[0:1]
	s_cbranch_execz .LBB0_17
; %bb.16:
	v_mul_f64 v[155:156], v[127:128], s[14:15]
	v_mul_f64 v[157:158], v[93:94], s[4:5]
	;; [unrolled: 1-line block ×5, first 2 shown]
	s_mov_b32 s39, 0x3fefac9e
	s_mov_b32 s38, s30
	v_mul_f64 v[163:164], v[105:106], s[18:19]
	v_add_f64 v[145:146], v[145:146], -v[155:156]
	v_add_f64 v[133:134], v[157:158], v[133:134]
	v_add_f64 v[141:142], v[141:142], -v[161:162]
	v_mul_f64 v[161:162], v[127:128], s[22:23]
	v_mul_f64 v[155:156], v[117:118], s[26:27]
	;; [unrolled: 1-line block ×4, first 2 shown]
	v_add_f64 v[139:140], v[139:140], -v[165:166]
	v_add_f64 v[145:146], v[62:63], v[145:146]
	v_add_f64 v[135:136], v[159:160], v[135:136]
	;; [unrolled: 1-line block ×3, first 2 shown]
	v_fma_f64 v[159:160], v[95:96], s[18:19], v[161:162]
	s_mov_b32 s37, 0xbfe14ced
	s_mov_b32 s36, s34
	v_mul_f64 v[167:168], v[111:112], s[24:25]
	v_mul_f64 v[169:170], v[125:126], s[28:29]
	v_add_f64 v[141:142], v[141:142], v[145:146]
	v_mul_f64 v[175:176], v[121:122], s[36:37]
	v_mul_f64 v[145:146], v[103:104], s[38:39]
	v_add_f64 v[149:150], v[155:156], v[149:150]
	v_add_f64 v[137:138], v[163:164], v[137:138]
	v_fma_f64 v[155:156], v[101:102], s[26:27], v[177:178]
	v_add_f64 v[159:160], v[62:63], v[159:160]
	v_add_f64 v[133:134], v[135:136], v[133:134]
	;; [unrolled: 1-line block ×3, first 2 shown]
	v_fma_f64 v[141:142], v[93:94], s[18:19], -v[173:174]
	v_mul_f64 v[157:158], v[109:110], s[36:37]
	v_add_f64 v[147:148], v[147:148], -v[169:170]
	v_add_f64 v[135:136], v[167:168], v[143:144]
	v_fma_f64 v[143:144], v[99:100], s[26:27], -v[145:146]
	v_fma_f64 v[163:164], v[107:108], s[20:21], v[175:176]
	v_add_f64 v[155:156], v[155:156], v[159:160]
	v_add_f64 v[133:134], v[137:138], v[133:134]
	;; [unrolled: 1-line block ×3, first 2 shown]
	v_fma_f64 v[137:138], v[95:96], s[18:19], -v[161:162]
	v_mul_f64 v[171:172], v[131:132], s[30:31]
	v_add_f64 v[139:140], v[147:148], v[139:140]
	v_mul_f64 v[147:148], v[125:126], s[14:15]
	v_mul_f64 v[159:160], v[123:124], s[14:15]
	v_fma_f64 v[161:162], v[105:106], s[20:21], -v[157:158]
	v_add_f64 v[155:156], v[163:164], v[155:156]
	v_add_f64 v[141:142], v[143:144], v[141:142]
	v_fma_f64 v[163:164], v[101:102], s[26:27], -v[177:178]
	v_add_f64 v[137:138], v[62:63], v[137:138]
	v_add_f64 v[151:152], v[151:152], -v[171:172]
	v_mul_f64 v[143:144], v[131:132], s[28:29]
	v_fma_f64 v[165:166], v[115:116], s[4:5], v[147:148]
	v_mul_f64 v[167:168], v[129:130], s[28:29]
	v_fma_f64 v[169:170], v[111:112], s[4:5], -v[159:160]
	v_add_f64 v[141:142], v[161:162], v[141:142]
	v_fma_f64 v[171:172], v[107:108], s[20:21], -v[175:176]
	v_fma_f64 v[173:174], v[93:94], s[18:19], v[173:174]
	v_add_f64 v[137:138], v[163:164], v[137:138]
	v_add_f64 v[133:134], v[135:136], v[133:134]
	v_fma_f64 v[161:162], v[119:120], s[24:25], v[143:144]
	v_add_f64 v[155:156], v[165:166], v[155:156]
	v_fma_f64 v[163:164], v[117:118], s[24:25], -v[167:168]
	v_add_f64 v[141:142], v[169:170], v[141:142]
	v_add_f64 v[135:136], v[151:152], v[139:140]
	v_fma_f64 v[147:148], v[115:116], s[4:5], -v[147:148]
	v_fma_f64 v[145:146], v[99:100], s[26:27], v[145:146]
	v_add_f64 v[151:152], v[60:61], v[173:174]
	v_add_f64 v[165:166], v[171:172], v[137:138]
	v_add_f64 v[133:134], v[149:150], v[133:134]
	v_add_f64 v[139:140], v[161:162], v[155:156]
	v_add_f64 v[137:138], v[163:164], v[141:142]
	v_fma_f64 v[141:142], v[119:120], s[24:25], -v[143:144]
	v_fma_f64 v[143:144], v[105:106], s[20:21], v[157:158]
	v_mul_f64 v[149:150], v[127:128], s[30:31]
	v_add_f64 v[145:146], v[145:146], v[151:152]
	v_add_f64 v[147:148], v[147:148], v[165:166]
	v_mul_f64 v[155:156], v[97:98], s[30:31]
	s_mov_b32 s41, 0x3fd207e7
	s_mov_b32 s40, s14
	v_fma_f64 v[151:152], v[111:112], s[4:5], v[159:160]
	v_mul_f64 v[157:158], v[113:114], s[40:41]
	v_fma_f64 v[159:160], v[95:96], s[26:27], v[149:150]
	v_add_f64 v[145:146], v[143:144], v[145:146]
	v_add_f64 v[143:144], v[141:142], v[147:148]
	v_mul_f64 v[147:148], v[103:104], s[40:41]
	v_fma_f64 v[161:162], v[93:94], s[26:27], -v[155:156]
	v_fma_f64 v[141:142], v[117:118], s[24:25], v[167:168]
	v_mul_f64 v[163:164], v[121:122], s[28:29]
	v_fma_f64 v[165:166], v[101:102], s[4:5], v[157:158]
	v_add_f64 v[159:160], v[62:63], v[159:160]
	v_add_f64 v[145:146], v[151:152], v[145:146]
	v_mul_f64 v[151:152], v[109:110], s[28:29]
	v_fma_f64 v[149:150], v[95:96], s[26:27], -v[149:150]
	v_fma_f64 v[167:168], v[99:100], s[4:5], -v[147:148]
	v_add_f64 v[161:162], v[60:61], v[161:162]
	v_mul_f64 v[169:170], v[125:126], s[36:37]
	v_fma_f64 v[171:172], v[107:108], s[24:25], v[163:164]
	v_add_f64 v[159:160], v[165:166], v[159:160]
	v_mul_f64 v[165:166], v[123:124], s[36:37]
	v_fma_f64 v[157:158], v[101:102], s[4:5], -v[157:158]
	v_add_f64 v[149:150], v[62:63], v[149:150]
	v_fma_f64 v[173:174], v[105:106], s[24:25], -v[151:152]
	v_add_f64 v[161:162], v[167:168], v[161:162]
	v_mul_f64 v[167:168], v[131:132], s[22:23]
	v_fma_f64 v[175:176], v[115:116], s[20:21], v[169:170]
	v_add_f64 v[159:160], v[171:172], v[159:160]
	v_fma_f64 v[163:164], v[107:108], s[24:25], -v[163:164]
	v_fma_f64 v[155:156], v[93:94], s[26:27], v[155:156]
	v_add_f64 v[149:150], v[157:158], v[149:150]
	v_fma_f64 v[157:158], v[111:112], s[20:21], -v[165:166]
	v_add_f64 v[161:162], v[173:174], v[161:162]
	v_mul_f64 v[171:172], v[129:130], s[22:23]
	v_add_f64 v[141:142], v[141:142], v[145:146]
	v_fma_f64 v[145:146], v[119:120], s[18:19], v[167:168]
	v_add_f64 v[159:160], v[175:176], v[159:160]
	v_fma_f64 v[169:170], v[115:116], s[20:21], -v[169:170]
	v_add_f64 v[149:150], v[163:164], v[149:150]
	v_add_f64 v[155:156], v[60:61], v[155:156]
	;; [unrolled: 1-line block ×3, first 2 shown]
	v_fma_f64 v[161:162], v[119:120], s[18:19], -v[167:168]
	v_fma_f64 v[167:168], v[99:100], s[4:5], v[147:148]
	v_fma_f64 v[163:164], v[117:118], s[18:19], -v[171:172]
	v_add_f64 v[147:148], v[145:146], v[159:160]
	v_fma_f64 v[159:160], v[105:106], s[24:25], v[151:152]
	v_add_f64 v[149:150], v[169:170], v[149:150]
	s_mov_b32 s29, 0xbfed1bb4
	v_add_f64 v[66:67], v[62:63], v[66:67]
	v_add_f64 v[64:65], v[60:61], v[64:65]
	;; [unrolled: 1-line block ×3, first 2 shown]
	v_mul_f64 v[173:174], v[127:128], s[28:29]
	v_add_f64 v[145:146], v[163:164], v[157:158]
	v_mul_f64 v[157:158], v[97:98], s[28:29]
	v_add_f64 v[151:152], v[161:162], v[149:150]
	v_fma_f64 v[149:150], v[111:112], s[20:21], v[165:166]
	v_add_f64 v[66:67], v[66:67], v[70:71]
	v_add_f64 v[68:69], v[64:65], v[68:69]
	;; [unrolled: 1-line block ×3, first 2 shown]
	v_mul_f64 v[163:164], v[113:114], s[22:23]
	v_mul_f64 v[161:162], v[103:104], s[22:23]
	v_fma_f64 v[165:166], v[93:94], s[24:25], -v[157:158]
	v_mul_f64 v[167:168], v[121:122], s[40:41]
	v_fma_f64 v[169:170], v[95:96], s[24:25], v[173:174]
	v_add_f64 v[66:67], v[66:67], v[74:75]
	v_add_f64 v[68:69], v[68:69], v[72:73]
	;; [unrolled: 1-line block ×3, first 2 shown]
	v_fma_f64 v[155:156], v[95:96], s[24:25], -v[173:174]
	v_fma_f64 v[175:176], v[101:102], s[18:19], v[163:164]
	v_fma_f64 v[177:178], v[99:100], s[18:19], -v[161:162]
	v_add_f64 v[165:166], v[60:61], v[165:166]
	v_fma_f64 v[163:164], v[101:102], s[18:19], -v[163:164]
	v_add_f64 v[66:67], v[66:67], v[78:79]
	v_add_f64 v[68:69], v[68:69], v[76:77]
	v_fma_f64 v[159:160], v[117:118], s[18:19], v[171:172]
	v_add_f64 v[155:156], v[62:63], v[155:156]
	v_fma_f64 v[181:182], v[107:108], s[4:5], v[167:168]
	v_fma_f64 v[167:168], v[107:108], s[4:5], -v[167:168]
	v_add_f64 v[165:166], v[177:178], v[165:166]
	v_mul_f64 v[177:178], v[131:132], s[34:35]
	v_fma_f64 v[157:158], v[93:94], s[24:25], v[157:158]
	v_mul_f64 v[127:128], v[127:128], s[36:37]
	v_mul_f64 v[76:77], v[97:98], s[36:37]
	v_add_f64 v[155:156], v[163:164], v[155:156]
	v_add_f64 v[169:170], v[62:63], v[169:170]
	v_mul_f64 v[171:172], v[109:110], s[40:41]
	v_add_f64 v[66:67], v[66:67], v[82:83]
	v_add_f64 v[68:69], v[68:69], v[80:81]
	;; [unrolled: 1-line block ×3, first 2 shown]
	v_fma_f64 v[159:160], v[119:120], s[20:21], v[177:178]
	v_fma_f64 v[161:162], v[99:100], s[18:19], v[161:162]
	v_add_f64 v[157:158], v[60:61], v[157:158]
	v_add_f64 v[155:156], v[167:168], v[155:156]
	v_fma_f64 v[167:168], v[119:120], s[20:21], -v[177:178]
	v_mul_f64 v[113:114], v[113:114], s[28:29]
	v_fma_f64 v[177:178], v[95:96], s[20:21], v[127:128]
	v_fma_f64 v[95:96], v[95:96], s[20:21], -v[127:128]
	v_mul_f64 v[97:98], v[103:104], s[28:29]
	v_fma_f64 v[80:81], v[93:94], s[20:21], v[76:77]
	v_mul_f64 v[179:180], v[125:126], s[38:39]
	v_add_f64 v[169:170], v[175:176], v[169:170]
	v_fma_f64 v[175:176], v[105:106], s[4:5], -v[171:172]
	v_fma_f64 v[76:77], v[93:94], s[20:21], -v[76:77]
	v_add_f64 v[66:67], v[66:67], v[86:87]
	v_add_f64 v[68:69], v[68:69], v[84:85]
	;; [unrolled: 1-line block ×3, first 2 shown]
	v_mul_f64 v[121:122], v[121:122], s[30:31]
	v_fma_f64 v[70:71], v[101:102], s[24:25], v[113:114]
	v_add_f64 v[161:162], v[62:63], v[177:178]
	v_mul_f64 v[82:83], v[109:110], s[30:31]
	v_fma_f64 v[93:94], v[101:102], s[24:25], -v[113:114]
	v_add_f64 v[62:63], v[62:63], v[95:96]
	v_fma_f64 v[95:96], v[99:100], s[24:25], v[97:98]
	v_add_f64 v[80:81], v[60:61], v[80:81]
	v_mul_f64 v[173:174], v[123:124], s[38:39]
	v_add_f64 v[165:166], v[175:176], v[165:166]
	v_fma_f64 v[175:176], v[115:116], s[26:27], -v[179:180]
	v_fma_f64 v[171:172], v[105:106], s[4:5], v[171:172]
	v_fma_f64 v[84:85], v[99:100], s[24:25], -v[97:98]
	v_add_f64 v[60:61], v[60:61], v[76:77]
	v_add_f64 v[6:7], v[66:67], v[6:7]
	;; [unrolled: 1-line block ×3, first 2 shown]
	v_mul_f64 v[125:126], v[125:126], s[22:23]
	v_fma_f64 v[72:73], v[107:108], s[26:27], v[121:122]
	v_add_f64 v[70:71], v[70:71], v[161:162]
	v_mul_f64 v[78:79], v[123:124], s[22:23]
	v_fma_f64 v[76:77], v[107:108], s[26:27], -v[121:122]
	v_add_f64 v[62:63], v[93:94], v[62:63]
	v_fma_f64 v[86:87], v[105:106], s[26:27], v[82:83]
	v_add_f64 v[66:67], v[95:96], v[80:81]
	v_fma_f64 v[190:191], v[111:112], s[26:27], -v[173:174]
	v_add_f64 v[155:156], v[175:176], v[155:156]
	v_fma_f64 v[173:174], v[111:112], s[26:27], v[173:174]
	v_add_f64 v[157:158], v[171:172], v[157:158]
	v_fma_f64 v[68:69], v[105:106], s[26:27], -v[82:83]
	v_add_f64 v[60:61], v[84:85], v[60:61]
	v_add_f64 v[6:7], v[6:7], v[10:11]
	;; [unrolled: 1-line block ×3, first 2 shown]
	v_mul_f64 v[131:132], v[131:132], s[14:15]
	v_add_f64 v[70:71], v[72:73], v[70:71]
	v_mul_f64 v[72:73], v[129:130], s[14:15]
	v_fma_f64 v[80:81], v[115:116], s[18:19], -v[125:126]
	v_add_f64 v[62:63], v[76:77], v[62:63]
	v_fma_f64 v[76:77], v[111:112], s[18:19], v[78:79]
	v_add_f64 v[8:9], v[86:87], v[66:67]
	v_add_f64 v[169:170], v[181:182], v[169:170]
	v_mul_f64 v[181:182], v[129:130], s[34:35]
	v_fma_f64 v[183:184], v[115:116], s[26:27], v[179:180]
	v_add_f64 v[64:65], v[167:168], v[155:156]
	v_add_f64 v[155:156], v[173:174], v[157:158]
	v_fma_f64 v[157:158], v[115:116], s[18:19], v[125:126]
	v_fma_f64 v[10:11], v[111:112], s[18:19], -v[78:79]
	v_add_f64 v[60:61], v[68:69], v[60:61]
	v_add_f64 v[6:7], v[6:7], v[14:15]
	;; [unrolled: 1-line block ×3, first 2 shown]
	v_fma_f64 v[66:67], v[119:120], s[4:5], -v[131:132]
	v_add_f64 v[62:63], v[80:81], v[62:63]
	v_fma_f64 v[68:69], v[117:118], s[4:5], v[72:73]
	v_add_f64 v[14:15], v[76:77], v[8:9]
	v_fma_f64 v[74:75], v[117:118], s[20:21], v[181:182]
	v_add_f64 v[163:164], v[183:184], v[169:170]
	v_fma_f64 v[169:170], v[117:118], s[20:21], -v[181:182]
	v_add_f64 v[165:166], v[190:191], v[165:166]
	v_fma_f64 v[76:77], v[119:120], s[4:5], v[131:132]
	v_add_f64 v[70:71], v[157:158], v[70:71]
	v_fma_f64 v[72:73], v[117:118], s[4:5], -v[72:73]
	v_add_f64 v[60:61], v[10:11], v[60:61]
	v_add_f64 v[8:9], v[6:7], v[2:3]
	;; [unrolled: 1-line block ×6, first 2 shown]
	v_add_lshl_u32 v0, v188, v189, 4
	v_add_f64 v[12:13], v[159:160], v[163:164]
	v_add_f64 v[10:11], v[169:170], v[165:166]
	;; [unrolled: 1-line block ×4, first 2 shown]
	ds_write_b128 v0, v[6:9]
	ds_write_b128 v0, v[2:5] offset:16
	ds_write_b128 v0, v[62:65] offset:32
	;; [unrolled: 1-line block ×10, first 2 shown]
.LBB0_17:
	s_or_b64 exec, exec, s[16:17]
	s_waitcnt lgkmcnt(0)
	s_barrier
	ds_read_b128 v[0:3], v153 offset:2464
	ds_read_b128 v[4:7], v153 offset:4928
	;; [unrolled: 1-line block ×4, first 2 shown]
	ds_read_b128 v[60:63], v153
	ds_read_b128 v[64:67], v153 offset:1232
	s_waitcnt lgkmcnt(5)
	v_mul_f64 v[68:69], v[26:27], v[2:3]
	s_waitcnt lgkmcnt(4)
	v_mul_f64 v[70:71], v[34:35], v[6:7]
	v_mul_f64 v[26:27], v[26:27], v[0:1]
	s_waitcnt lgkmcnt(3)
	v_mul_f64 v[72:73], v[22:23], v[8:9]
	v_mul_f64 v[22:23], v[22:23], v[10:11]
	s_mov_b32 s4, 0xe8584caa
	s_mov_b32 s5, 0xbfebb67a
	;; [unrolled: 1-line block ×3, first 2 shown]
	v_fma_f64 v[0:1], v[24:25], v[0:1], v[68:69]
	v_fma_f64 v[68:69], v[32:33], v[4:5], v[70:71]
	v_mul_f64 v[4:5], v[34:35], v[4:5]
	s_waitcnt lgkmcnt(2)
	v_mul_f64 v[34:35], v[30:31], v[12:13]
	s_waitcnt lgkmcnt(0)
	v_mul_f64 v[70:71], v[18:19], v[64:65]
	v_fma_f64 v[2:3], v[24:25], v[2:3], -v[26:27]
	v_fma_f64 v[10:11], v[20:21], v[10:11], -v[72:73]
	v_mul_f64 v[24:25], v[30:31], v[14:15]
	v_add_f64 v[30:31], v[60:61], v[0:1]
	v_add_f64 v[26:27], v[0:1], v[68:69]
	v_fma_f64 v[4:5], v[32:33], v[6:7], -v[4:5]
	v_fma_f64 v[6:7], v[28:29], v[14:15], -v[34:35]
	v_mul_f64 v[14:15], v[18:19], v[66:67]
	v_fma_f64 v[18:19], v[16:17], v[66:67], -v[70:71]
	v_fma_f64 v[8:9], v[20:21], v[8:9], v[22:23]
	v_fma_f64 v[12:13], v[28:29], v[12:13], v[24:25]
	s_mov_b32 s14, s4
	v_fma_f64 v[20:21], v[26:27], -0.5, v[60:61]
	v_add_f64 v[22:23], v[2:3], -v[4:5]
	v_add_f64 v[24:25], v[10:11], v[6:7]
	v_fma_f64 v[14:15], v[16:17], v[64:65], v[14:15]
	v_add_f64 v[16:17], v[30:31], v[68:69]
	v_add_f64 v[32:33], v[62:63], v[2:3]
	;; [unrolled: 1-line block ×3, first 2 shown]
	v_add_f64 v[30:31], v[8:9], -v[12:13]
	v_add_f64 v[2:3], v[2:3], v[4:5]
	v_fma_f64 v[28:29], v[22:23], s[4:5], v[20:21]
	v_fma_f64 v[24:25], v[24:25], -0.5, v[18:19]
	v_add_f64 v[34:35], v[10:11], -v[6:7]
	v_fma_f64 v[20:21], v[22:23], s[14:15], v[20:21]
	v_add_f64 v[0:1], v[0:1], -v[68:69]
	v_fma_f64 v[26:27], v[26:27], -0.5, v[14:15]
	v_add_f64 v[10:11], v[18:19], v[10:11]
	v_fma_f64 v[2:3], v[2:3], -0.5, v[62:63]
	v_fma_f64 v[22:23], v[30:31], s[14:15], v[24:25]
	v_fma_f64 v[24:25], v[30:31], s[4:5], v[24:25]
	v_add_f64 v[30:31], v[32:33], v[4:5]
	v_add_f64 v[4:5], v[14:15], v[8:9]
	v_fma_f64 v[8:9], v[34:35], s[4:5], v[26:27]
	v_fma_f64 v[14:15], v[34:35], s[14:15], v[26:27]
	;; [unrolled: 1-line block ×3, first 2 shown]
	v_add_f64 v[60:61], v[10:11], v[6:7]
	v_mul_f64 v[26:27], v[22:23], s[4:5]
	v_mul_f64 v[32:33], v[24:25], s[4:5]
	v_mul_f64 v[18:19], v[22:23], 0.5
	v_mul_f64 v[22:23], v[24:25], -0.5
	v_fma_f64 v[24:25], v[0:1], s[14:15], v[2:3]
	v_add_f64 v[12:13], v[4:5], v[12:13]
	s_barrier
	v_add_f64 v[2:3], v[30:31], v[60:61]
	v_fma_f64 v[26:27], v[8:9], 0.5, v[26:27]
	v_fma_f64 v[32:33], v[14:15], -0.5, v[32:33]
	v_fma_f64 v[18:19], v[8:9], s[14:15], v[18:19]
	v_fma_f64 v[22:23], v[14:15], s[14:15], v[22:23]
	v_add_f64 v[14:15], v[30:31], -v[60:61]
	v_add_f64 v[0:1], v[16:17], v[12:13]
	v_add_f64 v[12:13], v[16:17], -v[12:13]
	v_add_f64 v[4:5], v[28:29], v[26:27]
	v_add_f64 v[8:9], v[20:21], v[32:33]
	;; [unrolled: 1-line block ×4, first 2 shown]
	v_add_f64 v[16:17], v[28:29], -v[26:27]
	v_add_f64 v[20:21], v[20:21], -v[32:33]
	;; [unrolled: 1-line block ×4, first 2 shown]
	ds_write_b128 v154, v[0:3]
	ds_write_b128 v154, v[4:7] offset:176
	ds_write_b128 v154, v[8:11] offset:352
	;; [unrolled: 1-line block ×5, first 2 shown]
	s_waitcnt lgkmcnt(0)
	s_barrier
	s_and_saveexec_b64 s[4:5], s[2:3]
	s_cbranch_execz .LBB0_19
; %bb.18:
	ds_read_b128 v[0:3], v153
	ds_read_b128 v[4:7], v153 offset:1056
	ds_read_b128 v[8:11], v153 offset:2112
	;; [unrolled: 1-line block ×6, first 2 shown]
.LBB0_19:
	s_or_b64 exec, exec, s[4:5]
	s_and_saveexec_b64 s[4:5], s[2:3]
	s_cbranch_execz .LBB0_21
; %bb.20:
	s_waitcnt lgkmcnt(5)
	v_mul_f64 v[24:25], v[46:47], v[6:7]
	s_waitcnt lgkmcnt(0)
	v_mul_f64 v[26:27], v[54:55], v[90:91]
	v_mul_f64 v[28:29], v[38:39], v[18:19]
	;; [unrolled: 1-line block ×9, first 2 shown]
	v_fma_f64 v[28:29], v[36:37], v[16:17], v[28:29]
	v_fma_f64 v[30:31], v[40:41], v[12:13], v[30:31]
	;; [unrolled: 1-line block ×3, first 2 shown]
	v_mul_f64 v[12:13], v[42:43], v[12:13]
	v_fma_f64 v[32:33], v[52:53], v[90:91], -v[54:55]
	v_fma_f64 v[6:7], v[44:45], v[6:7], -v[46:47]
	;; [unrolled: 1-line block ×4, first 2 shown]
	v_mul_f64 v[16:17], v[38:39], v[16:17]
	v_fma_f64 v[20:21], v[56:57], v[20:21], v[34:35]
	v_fma_f64 v[4:5], v[44:45], v[4:5], v[24:25]
	;; [unrolled: 1-line block ×3, first 2 shown]
	v_fma_f64 v[12:13], v[40:41], v[14:15], -v[12:13]
	v_add_f64 v[38:39], v[6:7], v[32:33]
	v_add_f64 v[26:27], v[28:29], -v[30:31]
	v_add_f64 v[42:43], v[10:11], v[22:23]
	v_fma_f64 v[14:15], v[36:37], v[18:19], -v[16:17]
	v_add_f64 v[34:35], v[8:9], -v[20:21]
	s_mov_b32 s16, 0x37e14327
	v_add_f64 v[16:17], v[4:5], -v[24:25]
	s_mov_b32 s17, 0x3fe948f6
	v_add_f64 v[4:5], v[4:5], v[24:25]
	v_add_f64 v[8:9], v[8:9], v[20:21]
	;; [unrolled: 1-line block ×4, first 2 shown]
	v_add_f64 v[18:19], v[26:27], -v[34:35]
	v_add_f64 v[12:13], v[14:15], -v[12:13]
	;; [unrolled: 1-line block ×3, first 2 shown]
	v_add_f64 v[26:27], v[26:27], v[34:35]
	v_add_f64 v[10:11], v[10:11], -v[22:23]
	s_mov_b32 s18, 0xaaaaaaaa
	s_mov_b32 s20, 0x36b3c0b5
	v_add_f64 v[36:37], v[40:41], v[36:37]
	v_add_f64 v[46:47], v[38:39], -v[40:41]
	v_add_f64 v[40:41], v[40:41], -v[42:43]
	s_mov_b32 s19, 0xbff2aaaa
	v_add_f64 v[24:25], v[26:27], v[16:17]
	s_mov_b32 s21, 0x3fac98ee
	v_add_f64 v[28:29], v[30:31], v[28:29]
	v_add_f64 v[32:33], v[6:7], -v[32:33]
	v_add_f64 v[2:3], v[2:3], v[36:37]
	v_mul_f64 v[26:27], v[46:47], s[16:17]
	v_add_f64 v[46:47], v[8:9], v[4:5]
	v_add_f64 v[6:7], v[12:13], -v[10:11]
	v_add_f64 v[16:17], v[34:35], -v[16:17]
	s_mov_b32 s14, 0xe976ee23
	s_mov_b32 s15, 0x3fe11646
	v_mul_f64 v[18:19], v[18:19], s[14:15]
	v_fma_f64 v[30:31], v[36:37], s[18:19], v[2:3]
	v_fma_f64 v[14:15], v[40:41], s[20:21], v[26:27]
	v_add_f64 v[22:23], v[28:29], v[46:47]
	v_add_f64 v[36:37], v[4:5], -v[28:29]
	v_add_f64 v[34:35], v[32:33], -v[12:13]
	;; [unrolled: 1-line block ×4, first 2 shown]
	s_mov_b32 s3, 0xbfd5d0dc
	s_mov_b32 s2, 0xb247c609
	v_add_f64 v[46:47], v[14:15], v[30:31]
	v_add_f64 v[14:15], v[28:29], -v[8:9]
	v_mul_f64 v[28:29], v[40:41], s[20:21]
	v_mul_f64 v[40:41], v[6:7], s[14:15]
	s_mov_b32 s14, 0x429ad128
	s_mov_b32 s15, 0xbfebfeb5
	v_mul_f64 v[50:51], v[16:17], s[14:15]
	v_mul_f64 v[36:37], v[36:37], s[16:17]
	v_add_f64 v[4:5], v[8:9], -v[4:5]
	v_fma_f64 v[20:21], v[44:45], s[2:3], v[18:19]
	v_add_f64 v[0:1], v[0:1], v[22:23]
	v_fma_f64 v[52:53], v[34:35], s[2:3], v[40:41]
	v_add_f64 v[8:9], v[12:13], v[10:11]
	s_mov_b32 s3, 0x3fd5d0dc
	s_mov_b32 s17, 0xbfe77f67
	;; [unrolled: 1-line block ×3, first 2 shown]
	v_fma_f64 v[10:11], v[44:45], s[2:3], -v[50:51]
	v_fma_f64 v[12:13], v[38:39], s[16:17], -v[26:27]
	v_mul_f64 v[26:27], v[42:43], s[14:15]
	v_mul_f64 v[48:49], v[14:15], s[20:21]
	s_mov_b32 s22, 0x37c3f68c
	v_fma_f64 v[14:15], v[14:15], s[20:21], v[36:37]
	v_fma_f64 v[36:37], v[4:5], s[16:17], -v[36:37]
	s_mov_b32 s17, 0x3fe77f67
	s_mov_b32 s23, 0xbfdc38aa
	v_fma_f64 v[22:23], v[22:23], s[18:19], v[0:1]
	v_fma_f64 v[28:29], v[38:39], s[16:17], -v[28:29]
	v_fma_f64 v[16:17], v[16:17], s[14:15], -v[18:19]
	v_add_f64 v[8:9], v[8:9], v[32:33]
	v_fma_f64 v[32:33], v[24:25], s[22:23], v[10:11]
	v_fma_f64 v[10:11], v[34:35], s[2:3], -v[26:27]
	v_fma_f64 v[4:5], v[4:5], s[16:17], -v[48:49]
	;; [unrolled: 1-line block ×3, first 2 shown]
	v_fma_f64 v[20:21], v[24:25], s[22:23], v[20:21]
	v_add_f64 v[12:13], v[12:13], v[30:31]
	v_add_f64 v[26:27], v[28:29], v[30:31]
	v_fma_f64 v[16:17], v[24:25], s[22:23], v[16:17]
	v_add_f64 v[28:29], v[14:15], v[22:23]
	v_fma_f64 v[30:31], v[8:9], s[22:23], v[52:53]
	;; [unrolled: 2-line block ×4, first 2 shown]
	v_add_f64 v[6:7], v[20:21], v[46:47]
	v_add_f64 v[14:15], v[26:27], -v[16:17]
	v_add_f64 v[18:19], v[16:17], v[26:27]
	v_add_f64 v[26:27], v[46:47], -v[20:21]
	;; [unrolled: 2-line block ×4, first 2 shown]
	v_add_f64 v[10:11], v[32:33], v[12:13]
	v_add_f64 v[12:13], v[8:9], v[4:5]
	v_add_f64 v[8:9], v[34:35], -v[36:37]
	v_add_f64 v[4:5], v[28:29], -v[30:31]
	v_lshl_add_u32 v28, v188, 4, v186
	ds_write_b128 v28, v[0:3]
	ds_write_b128 v28, v[24:27] offset:1056
	ds_write_b128 v28, v[20:23] offset:2112
	;; [unrolled: 1-line block ×6, first 2 shown]
.LBB0_21:
	s_or_b64 exec, exec, s[4:5]
	s_waitcnt lgkmcnt(0)
	s_barrier
	s_and_b64 exec, exec, s[0:1]
	s_cbranch_execz .LBB0_23
; %bb.22:
	global_load_dwordx4 v[0:3], v186, s[12:13]
	global_load_dwordx4 v[4:7], v186, s[12:13] offset:672
	global_load_dwordx4 v[8:11], v186, s[12:13] offset:1344
	global_load_dwordx4 v[12:15], v186, s[12:13] offset:2016
	global_load_dwordx4 v[16:19], v186, s[12:13] offset:2688
	global_load_dwordx4 v[20:23], v186, s[12:13] offset:3360
	global_load_dwordx4 v[24:27], v186, s[12:13] offset:4032
	v_mov_b32_e32 v29, s13
	v_add_co_u32_e32 v52, vcc, s12, v186
	s_movk_i32 s5, 0x1000
	v_addc_co_u32_e32 v53, vcc, 0, v29, vcc
	v_add_co_u32_e32 v72, vcc, s5, v52
	v_lshl_add_u32 v28, v185, 4, v187
	v_add_u32_e32 v86, v187, v186
	v_addc_co_u32_e32 v73, vcc, 0, v53, vcc
	ds_read_b128 v[28:31], v28
	ds_read_b128 v[32:35], v86 offset:672
	ds_read_b128 v[36:39], v86 offset:1344
	;; [unrolled: 1-line block ×5, first 2 shown]
	global_load_dwordx4 v[52:55], v[72:73], off offset:608
	global_load_dwordx4 v[56:59], v[72:73], off offset:1280
	v_mad_u64_u32 v[68:69], s[0:1], s10, v92, 0
	v_mad_u64_u32 v[70:71], s[2:3], s8, v185, 0
	s_mul_i32 s3, s9, 0x2a0
	s_mul_hi_u32 s4, s8, 0x2a0
	v_mov_b32_e32 v60, v69
	v_mov_b32_e32 v61, v71
	s_add_i32 s3, s4, s3
	v_mad_u64_u32 v[74:75], s[4:5], s11, v92, v[60:61]
	v_mad_u64_u32 v[75:76], s[4:5], s9, v185, v[61:62]
	global_load_dwordx4 v[60:63], v[72:73], off offset:1952
	global_load_dwordx4 v[64:67], v[72:73], off offset:2624
	v_mov_b32_e32 v69, v74
	v_lshlrev_b64 v[68:69], 4, v[68:69]
	v_mov_b32_e32 v71, v75
	v_mov_b32_e32 v77, s7
	v_lshlrev_b64 v[70:71], 4, v[70:71]
	v_add_co_u32_e32 v68, vcc, s6, v68
	v_addc_co_u32_e32 v69, vcc, v77, v69, vcc
	v_add_co_u32_e32 v68, vcc, v68, v70
	s_mul_i32 s2, s8, 0x2a0
	v_addc_co_u32_e32 v69, vcc, v69, v71, vcc
	v_mov_b32_e32 v78, s3
	v_add_co_u32_e32 v70, vcc, s2, v68
	v_addc_co_u32_e32 v71, vcc, v69, v78, vcc
	v_mov_b32_e32 v79, s3
	v_add_co_u32_e32 v72, vcc, s2, v70
	v_addc_co_u32_e32 v73, vcc, v71, v79, vcc
	s_mov_b32 s0, 0x4046ed29
	s_mov_b32 s1, 0x3f61bb4a
	v_mov_b32_e32 v87, s3
	s_waitcnt vmcnt(10) lgkmcnt(5)
	v_mul_f64 v[74:75], v[30:31], v[2:3]
	v_mul_f64 v[2:3], v[28:29], v[2:3]
	s_waitcnt vmcnt(9) lgkmcnt(4)
	v_mul_f64 v[76:77], v[34:35], v[6:7]
	v_mul_f64 v[6:7], v[32:33], v[6:7]
	;; [unrolled: 3-line block ×4, first 2 shown]
	v_fma_f64 v[28:29], v[28:29], v[0:1], v[74:75]
	v_fma_f64 v[2:3], v[0:1], v[30:31], -v[2:3]
	v_fma_f64 v[30:31], v[32:33], v[4:5], v[76:77]
	v_fma_f64 v[6:7], v[4:5], v[34:35], -v[6:7]
	;; [unrolled: 2-line block ×3, first 2 shown]
	s_waitcnt vmcnt(6) lgkmcnt(1)
	v_mul_f64 v[82:83], v[46:47], v[18:19]
	v_mul_f64 v[18:19], v[44:45], v[18:19]
	v_fma_f64 v[34:35], v[40:41], v[12:13], v[80:81]
	v_fma_f64 v[14:15], v[12:13], v[42:43], -v[14:15]
	v_mul_f64 v[0:1], v[28:29], s[0:1]
	v_mul_f64 v[2:3], v[2:3], s[0:1]
	;; [unrolled: 1-line block ×6, first 2 shown]
	s_waitcnt vmcnt(5) lgkmcnt(0)
	v_mul_f64 v[84:85], v[50:51], v[22:23]
	v_mul_f64 v[22:23], v[48:49], v[22:23]
	v_fma_f64 v[28:29], v[44:45], v[16:17], v[82:83]
	v_fma_f64 v[16:17], v[16:17], v[46:47], -v[18:19]
	v_mul_f64 v[12:13], v[34:35], s[0:1]
	v_mul_f64 v[14:15], v[14:15], s[0:1]
	global_store_dwordx4 v[68:69], v[0:3], off
	global_store_dwordx4 v[70:71], v[4:7], off
	;; [unrolled: 1-line block ×3, first 2 shown]
	ds_read_b128 v[4:7], v86 offset:4032
	ds_read_b128 v[8:11], v86 offset:4704
	v_add_co_u32_e32 v18, vcc, s2, v72
	v_addc_co_u32_e32 v19, vcc, v73, v87, vcc
	global_store_dwordx4 v[18:19], v[12:15], off
	v_mul_f64 v[0:1], v[28:29], s[0:1]
	v_mul_f64 v[2:3], v[16:17], s[0:1]
	v_fma_f64 v[12:13], v[48:49], v[20:21], v[84:85]
	v_fma_f64 v[14:15], v[20:21], v[50:51], -v[22:23]
	s_waitcnt vmcnt(8) lgkmcnt(1)
	v_mul_f64 v[16:17], v[6:7], v[26:27]
	v_mul_f64 v[20:21], v[4:5], v[26:27]
	v_mov_b32_e32 v28, s3
	v_add_co_u32_e32 v18, vcc, s2, v18
	v_addc_co_u32_e32 v19, vcc, v19, v28, vcc
	global_store_dwordx4 v[18:19], v[0:3], off
	v_fma_f64 v[4:5], v[4:5], v[24:25], v[16:17]
	v_mul_f64 v[0:1], v[12:13], s[0:1]
	v_mul_f64 v[2:3], v[14:15], s[0:1]
	v_fma_f64 v[6:7], v[24:25], v[6:7], -v[20:21]
	s_waitcnt vmcnt(8) lgkmcnt(0)
	v_mul_f64 v[12:13], v[10:11], v[54:55]
	v_mul_f64 v[14:15], v[8:9], v[54:55]
	v_mov_b32_e32 v22, s3
	v_add_co_u32_e32 v16, vcc, s2, v18
	v_addc_co_u32_e32 v17, vcc, v19, v22, vcc
	global_store_dwordx4 v[16:17], v[0:3], off
	v_fma_f64 v[12:13], v[8:9], v[52:53], v[12:13]
	v_mul_f64 v[0:1], v[4:5], s[0:1]
	v_mul_f64 v[2:3], v[6:7], s[0:1]
	ds_read_b128 v[4:7], v86 offset:5376
	v_fma_f64 v[14:15], v[52:53], v[10:11], -v[14:15]
	ds_read_b128 v[8:11], v86 offset:6048
	v_add_co_u32_e32 v16, vcc, s2, v16
	s_waitcnt vmcnt(8) lgkmcnt(1)
	v_mul_f64 v[18:19], v[6:7], v[58:59]
	v_mul_f64 v[20:21], v[4:5], v[58:59]
	v_addc_co_u32_e32 v17, vcc, v17, v22, vcc
	global_store_dwordx4 v[16:17], v[0:3], off
	v_add_co_u32_e32 v16, vcc, s2, v16
	v_mul_f64 v[0:1], v[12:13], s[0:1]
	v_mul_f64 v[2:3], v[14:15], s[0:1]
	v_fma_f64 v[12:13], v[4:5], v[56:57], v[18:19]
	v_fma_f64 v[14:15], v[56:57], v[6:7], -v[20:21]
	ds_read_b128 v[4:7], v86 offset:6720
	s_waitcnt vmcnt(8) lgkmcnt(1)
	v_mul_f64 v[18:19], v[10:11], v[62:63]
	v_mul_f64 v[20:21], v[8:9], v[62:63]
	v_addc_co_u32_e32 v17, vcc, v17, v22, vcc
	s_waitcnt vmcnt(7) lgkmcnt(0)
	v_mul_f64 v[22:23], v[6:7], v[66:67]
	v_mul_f64 v[24:25], v[4:5], v[66:67]
	global_store_dwordx4 v[16:17], v[0:3], off
	v_fma_f64 v[8:9], v[8:9], v[60:61], v[18:19]
	v_mul_f64 v[0:1], v[12:13], s[0:1]
	v_mul_f64 v[2:3], v[14:15], s[0:1]
	v_fma_f64 v[10:11], v[60:61], v[10:11], -v[20:21]
	v_fma_f64 v[4:5], v[4:5], v[64:65], v[22:23]
	v_fma_f64 v[6:7], v[64:65], v[6:7], -v[24:25]
	v_mov_b32_e32 v13, s3
	v_add_co_u32_e32 v12, vcc, s2, v16
	v_addc_co_u32_e32 v13, vcc, v17, v13, vcc
	global_store_dwordx4 v[12:13], v[0:3], off
	v_mul_f64 v[4:5], v[4:5], s[0:1]
	v_mul_f64 v[0:1], v[8:9], s[0:1]
	;; [unrolled: 1-line block ×4, first 2 shown]
	v_mov_b32_e32 v9, s3
	v_add_co_u32_e32 v8, vcc, s2, v12
	v_addc_co_u32_e32 v9, vcc, v13, v9, vcc
	global_store_dwordx4 v[8:9], v[0:3], off
	s_nop 0
	v_mov_b32_e32 v1, s3
	v_add_co_u32_e32 v0, vcc, s2, v8
	v_addc_co_u32_e32 v1, vcc, v9, v1, vcc
	global_store_dwordx4 v[0:1], v[4:7], off
.LBB0_23:
	s_endpgm
	.section	.rodata,"a",@progbits
	.p2align	6, 0x0
	.amdhsa_kernel bluestein_single_fwd_len462_dim1_dp_op_CI_CI
		.amdhsa_group_segment_fixed_size 22176
		.amdhsa_private_segment_fixed_size 0
		.amdhsa_kernarg_size 104
		.amdhsa_user_sgpr_count 6
		.amdhsa_user_sgpr_private_segment_buffer 1
		.amdhsa_user_sgpr_dispatch_ptr 0
		.amdhsa_user_sgpr_queue_ptr 0
		.amdhsa_user_sgpr_kernarg_segment_ptr 1
		.amdhsa_user_sgpr_dispatch_id 0
		.amdhsa_user_sgpr_flat_scratch_init 0
		.amdhsa_user_sgpr_private_segment_size 0
		.amdhsa_uses_dynamic_stack 0
		.amdhsa_system_sgpr_private_segment_wavefront_offset 0
		.amdhsa_system_sgpr_workgroup_id_x 1
		.amdhsa_system_sgpr_workgroup_id_y 0
		.amdhsa_system_sgpr_workgroup_id_z 0
		.amdhsa_system_sgpr_workgroup_info 0
		.amdhsa_system_vgpr_workitem_id 0
		.amdhsa_next_free_vgpr 248
		.amdhsa_next_free_sgpr 42
		.amdhsa_reserve_vcc 1
		.amdhsa_reserve_flat_scratch 0
		.amdhsa_float_round_mode_32 0
		.amdhsa_float_round_mode_16_64 0
		.amdhsa_float_denorm_mode_32 3
		.amdhsa_float_denorm_mode_16_64 3
		.amdhsa_dx10_clamp 1
		.amdhsa_ieee_mode 1
		.amdhsa_fp16_overflow 0
		.amdhsa_exception_fp_ieee_invalid_op 0
		.amdhsa_exception_fp_denorm_src 0
		.amdhsa_exception_fp_ieee_div_zero 0
		.amdhsa_exception_fp_ieee_overflow 0
		.amdhsa_exception_fp_ieee_underflow 0
		.amdhsa_exception_fp_ieee_inexact 0
		.amdhsa_exception_int_div_zero 0
	.end_amdhsa_kernel
	.text
.Lfunc_end0:
	.size	bluestein_single_fwd_len462_dim1_dp_op_CI_CI, .Lfunc_end0-bluestein_single_fwd_len462_dim1_dp_op_CI_CI
                                        ; -- End function
	.section	.AMDGPU.csdata,"",@progbits
; Kernel info:
; codeLenInByte = 12932
; NumSgprs: 46
; NumVgprs: 248
; ScratchSize: 0
; MemoryBound: 0
; FloatMode: 240
; IeeeMode: 1
; LDSByteSize: 22176 bytes/workgroup (compile time only)
; SGPRBlocks: 5
; VGPRBlocks: 61
; NumSGPRsForWavesPerEU: 46
; NumVGPRsForWavesPerEU: 248
; Occupancy: 1
; WaveLimiterHint : 1
; COMPUTE_PGM_RSRC2:SCRATCH_EN: 0
; COMPUTE_PGM_RSRC2:USER_SGPR: 6
; COMPUTE_PGM_RSRC2:TRAP_HANDLER: 0
; COMPUTE_PGM_RSRC2:TGID_X_EN: 1
; COMPUTE_PGM_RSRC2:TGID_Y_EN: 0
; COMPUTE_PGM_RSRC2:TGID_Z_EN: 0
; COMPUTE_PGM_RSRC2:TIDIG_COMP_CNT: 0
	.type	__hip_cuid_ffe1e7021b0d5fc8,@object ; @__hip_cuid_ffe1e7021b0d5fc8
	.section	.bss,"aw",@nobits
	.globl	__hip_cuid_ffe1e7021b0d5fc8
__hip_cuid_ffe1e7021b0d5fc8:
	.byte	0                               ; 0x0
	.size	__hip_cuid_ffe1e7021b0d5fc8, 1

	.ident	"AMD clang version 19.0.0git (https://github.com/RadeonOpenCompute/llvm-project roc-6.4.0 25133 c7fe45cf4b819c5991fe208aaa96edf142730f1d)"
	.section	".note.GNU-stack","",@progbits
	.addrsig
	.addrsig_sym __hip_cuid_ffe1e7021b0d5fc8
	.amdgpu_metadata
---
amdhsa.kernels:
  - .args:
      - .actual_access:  read_only
        .address_space:  global
        .offset:         0
        .size:           8
        .value_kind:     global_buffer
      - .actual_access:  read_only
        .address_space:  global
        .offset:         8
        .size:           8
        .value_kind:     global_buffer
      - .actual_access:  read_only
        .address_space:  global
        .offset:         16
        .size:           8
        .value_kind:     global_buffer
      - .actual_access:  read_only
        .address_space:  global
        .offset:         24
        .size:           8
        .value_kind:     global_buffer
      - .actual_access:  read_only
        .address_space:  global
        .offset:         32
        .size:           8
        .value_kind:     global_buffer
      - .offset:         40
        .size:           8
        .value_kind:     by_value
      - .address_space:  global
        .offset:         48
        .size:           8
        .value_kind:     global_buffer
      - .address_space:  global
        .offset:         56
        .size:           8
        .value_kind:     global_buffer
      - .address_space:  global
        .offset:         64
        .size:           8
        .value_kind:     global_buffer
      - .address_space:  global
        .offset:         72
        .size:           8
        .value_kind:     global_buffer
      - .offset:         80
        .size:           4
        .value_kind:     by_value
      - .address_space:  global
        .offset:         88
        .size:           8
        .value_kind:     global_buffer
      - .address_space:  global
        .offset:         96
        .size:           8
        .value_kind:     global_buffer
    .group_segment_fixed_size: 22176
    .kernarg_segment_align: 8
    .kernarg_segment_size: 104
    .language:       OpenCL C
    .language_version:
      - 2
      - 0
    .max_flat_workgroup_size: 231
    .name:           bluestein_single_fwd_len462_dim1_dp_op_CI_CI
    .private_segment_fixed_size: 0
    .sgpr_count:     46
    .sgpr_spill_count: 0
    .symbol:         bluestein_single_fwd_len462_dim1_dp_op_CI_CI.kd
    .uniform_work_group_size: 1
    .uses_dynamic_stack: false
    .vgpr_count:     248
    .vgpr_spill_count: 0
    .wavefront_size: 64
amdhsa.target:   amdgcn-amd-amdhsa--gfx906
amdhsa.version:
  - 1
  - 2
...

	.end_amdgpu_metadata
